;; amdgpu-corpus repo=zjin-lcf/HeCBench kind=compiled arch=gfx906 opt=O3
	.amdgcn_target "amdgcn-amd-amdhsa--gfx906"
	.amdhsa_code_object_version 6
	.section	.text._Z14vol2col_kernelIfEvlPKT_iiiiiiiiiiiiiiiiiiPS0_,"axG",@progbits,_Z14vol2col_kernelIfEvlPKT_iiiiiiiiiiiiiiiiiiPS0_,comdat
	.protected	_Z14vol2col_kernelIfEvlPKT_iiiiiiiiiiiiiiiiiiPS0_ ; -- Begin function _Z14vol2col_kernelIfEvlPKT_iiiiiiiiiiiiiiiiiiPS0_
	.globl	_Z14vol2col_kernelIfEvlPKT_iiiiiiiiiiiiiiiiiiPS0_
	.p2align	8
	.type	_Z14vol2col_kernelIfEvlPKT_iiiiiiiiiiiiiiiiiiPS0_,@function
_Z14vol2col_kernelIfEvlPKT_iiiiiiiiiiiiiiiiiiPS0_: ; @_Z14vol2col_kernelIfEvlPKT_iiiiiiiiiiiiiiiiiiPS0_
; %bb.0:
	s_load_dword s2, s[4:5], 0x6c
	s_load_dwordx4 s[24:27], s[4:5], 0x0
	s_add_u32 s0, s4, 0x60
	s_addc_u32 s1, s5, 0
	v_mov_b32_e32 v2, 0
	s_waitcnt lgkmcnt(0)
	s_and_b32 s2, s2, 0xffff
	s_mul_i32 s6, s6, s2
	v_add_u32_e32 v0, s6, v0
	v_mov_b32_e32 v1, v2
	v_cmp_gt_i64_e32 vcc, s[24:25], v[0:1]
	s_and_saveexec_b64 s[6:7], vcc
	s_cbranch_execz .LBB0_26
; %bb.1:
	s_load_dwordx16 s[8:23], s[4:5], 0x10
	s_load_dwordx4 s[28:31], s[4:5], 0x50
	s_load_dword s3, s[0:1], 0x0
	s_mov_b64 s[40:41], 0
	s_waitcnt lgkmcnt(0)
	s_ashr_i32 s51, s23, 31
	s_ashr_i32 s33, s29, 31
	;; [unrolled: 1-line block ×3, first 2 shown]
	s_cmp_gt_i32 s11, 0
	s_mul_i32 s0, s28, s23
	s_cselect_b64 s[6:7], -1, 0
	s_cmp_gt_i32 s12, 0
	s_mul_i32 s1, s12, s13
	s_mul_i32 s0, s0, s29
	s_cselect_b64 s[34:35], -1, 0
	s_cmp_gt_i32 s13, 0
	s_mul_i32 s52, s1, s23
	s_cselect_b64 s[36:37], -1, 0
	s_ashr_i32 s1, s0, 31
	s_mul_i32 s54, s20, s10
	s_mov_b32 s48, s29
	s_mov_b32 s50, s28
	s_mul_i32 s52, s52, s11
	s_mul_i32 s53, s3, s2
	s_lshl_b64 s[38:39], s[0:1], 2
	s_mul_i32 s54, s54, s9
	s_mul_i32 s55, s21, s10
	s_ashr_i32 s42, s33, 31
	s_branch .LBB0_3
.LBB0_2:                                ;   in Loop: Header=BB0_3 Depth=1
	v_add_co_u32_e32 v0, vcc, s53, v0
	v_addc_co_u32_e32 v1, vcc, 0, v1, vcc
	v_cmp_le_i64_e32 vcc, s[24:25], v[0:1]
	s_or_b64 s[40:41], vcc, s[40:41]
	s_andn2_b64 exec, exec, s[40:41]
	s_cbranch_execz .LBB0_26
.LBB0_3:                                ; =>This Loop Header: Depth=1
                                        ;     Child Loop BB0_18 Depth 2
                                        ;       Child Loop BB0_21 Depth 3
                                        ;         Child Loop BB0_24 Depth 4
	v_or_b32_e32 v3, s33, v1
	v_cmp_ne_u64_e32 vcc, 0, v[2:3]
                                        ; implicit-def: $vgpr4_vgpr5
	s_and_saveexec_b64 s[0:1], vcc
	s_xor_b64 s[2:3], exec, s[0:1]
	s_cbranch_execz .LBB0_5
; %bb.4:                                ;   in Loop: Header=BB0_3 Depth=1
	s_add_u32 s0, s48, s42
	s_mov_b32 s43, s42
	s_addc_u32 s1, s33, s42
	s_xor_b64 s[4:5], s[0:1], s[42:43]
	v_cvt_f32_u32_e32 v3, s4
	v_cvt_f32_u32_e32 v4, s5
	s_sub_u32 s43, 0, s4
	s_subb_u32 s44, 0, s5
	v_ashrrev_i32_e32 v7, 31, v1
	v_mac_f32_e32 v3, 0x4f800000, v4
	v_rcp_f32_e32 v3, v3
	v_mul_f32_e32 v3, 0x5f7ffffc, v3
	v_mul_f32_e32 v4, 0x2f800000, v3
	v_trunc_f32_e32 v4, v4
	v_mac_f32_e32 v3, 0xcf800000, v4
	v_cvt_u32_f32_e32 v4, v4
	v_cvt_u32_f32_e32 v3, v3
	v_readfirstlane_b32 s45, v4
	v_readfirstlane_b32 s0, v3
	s_mul_i32 s1, s43, s45
	s_mul_hi_u32 s47, s43, s0
	s_mul_i32 s46, s44, s0
	s_add_i32 s1, s47, s1
	s_add_i32 s1, s1, s46
	s_mul_i32 s56, s43, s0
	s_mul_i32 s47, s0, s1
	s_mul_hi_u32 s57, s0, s56
	s_mul_hi_u32 s46, s0, s1
	s_add_u32 s47, s57, s47
	s_addc_u32 s46, 0, s46
	s_mul_hi_u32 s58, s45, s56
	s_mul_i32 s56, s45, s56
	s_add_u32 s47, s47, s56
	s_mul_hi_u32 s57, s45, s1
	s_addc_u32 s46, s46, s58
	s_addc_u32 s47, s57, 0
	s_mul_i32 s1, s45, s1
	s_add_u32 s1, s46, s1
	s_addc_u32 s46, 0, s47
	s_add_u32 s47, s0, s1
	s_cselect_b64 s[0:1], -1, 0
	s_cmp_lg_u64 s[0:1], 0
	s_addc_u32 s45, s45, s46
	s_mul_i32 s0, s43, s45
	s_mul_hi_u32 s1, s43, s47
	s_add_i32 s0, s1, s0
	s_mul_i32 s44, s44, s47
	s_add_i32 s0, s0, s44
	s_mul_i32 s43, s43, s47
	s_mul_hi_u32 s44, s45, s43
	s_mul_i32 s46, s45, s43
	s_mul_i32 s57, s47, s0
	s_mul_hi_u32 s43, s47, s43
	s_mul_hi_u32 s56, s47, s0
	s_add_u32 s43, s43, s57
	s_addc_u32 s56, 0, s56
	s_add_u32 s43, s43, s46
	s_mul_hi_u32 s1, s45, s0
	s_addc_u32 s43, s56, s44
	s_addc_u32 s1, s1, 0
	s_mul_i32 s0, s45, s0
	s_add_u32 s0, s43, s0
	s_addc_u32 s43, 0, s1
	s_add_u32 s44, s47, s0
	s_cselect_b64 s[0:1], -1, 0
	s_cmp_lg_u64 s[0:1], 0
	v_add_co_u32_e32 v3, vcc, v0, v7
	s_addc_u32 s43, s45, s43
	v_xor_b32_e32 v8, v3, v7
	v_mad_u64_u32 v[3:4], s[0:1], v8, s43, 0
	v_mul_hi_u32 v6, v8, s44
	v_addc_co_u32_e32 v5, vcc, v1, v7, vcc
	v_xor_b32_e32 v9, v5, v7
	v_add_co_u32_e32 v10, vcc, v6, v3
	v_addc_co_u32_e32 v11, vcc, 0, v4, vcc
	v_mad_u64_u32 v[3:4], s[0:1], v9, s44, 0
	v_mad_u64_u32 v[5:6], s[0:1], v9, s43, 0
	v_add_co_u32_e32 v3, vcc, v10, v3
	v_addc_co_u32_e32 v3, vcc, v11, v4, vcc
	v_addc_co_u32_e32 v4, vcc, 0, v6, vcc
	v_add_co_u32_e32 v5, vcc, v3, v5
	v_addc_co_u32_e32 v6, vcc, 0, v4, vcc
	v_mul_lo_u32 v10, s5, v5
	v_mul_lo_u32 v11, s4, v6
	v_mad_u64_u32 v[3:4], s[0:1], s4, v5, 0
	v_add3_u32 v4, v4, v11, v10
	v_sub_u32_e32 v10, v9, v4
	v_mov_b32_e32 v11, s5
	v_sub_co_u32_e32 v3, vcc, v8, v3
	v_subb_co_u32_e64 v8, s[0:1], v10, v11, vcc
	v_subrev_co_u32_e64 v10, s[0:1], s4, v3
	v_subbrev_co_u32_e64 v8, s[0:1], 0, v8, s[0:1]
	v_cmp_le_u32_e64 s[0:1], s5, v8
	v_cndmask_b32_e64 v11, 0, -1, s[0:1]
	v_cmp_le_u32_e64 s[0:1], s4, v10
	v_cndmask_b32_e64 v10, 0, -1, s[0:1]
	v_cmp_eq_u32_e64 s[0:1], s5, v8
	v_cndmask_b32_e64 v8, v11, v10, s[0:1]
	v_add_co_u32_e64 v10, s[0:1], 2, v5
	v_subb_co_u32_e32 v4, vcc, v9, v4, vcc
	v_addc_co_u32_e64 v11, s[0:1], 0, v6, s[0:1]
	v_cmp_le_u32_e32 vcc, s5, v4
	v_add_co_u32_e64 v12, s[0:1], 1, v5
	v_cndmask_b32_e64 v9, 0, -1, vcc
	v_cmp_le_u32_e32 vcc, s4, v3
	v_addc_co_u32_e64 v13, s[0:1], 0, v6, s[0:1]
	v_cndmask_b32_e64 v3, 0, -1, vcc
	v_cmp_eq_u32_e32 vcc, s5, v4
	v_cmp_ne_u32_e64 s[0:1], 0, v8
	v_cndmask_b32_e32 v3, v9, v3, vcc
	v_cmp_ne_u32_e32 vcc, 0, v3
	v_cndmask_b32_e64 v4, v12, v10, s[0:1]
	v_cndmask_b32_e64 v8, v13, v11, s[0:1]
	v_cndmask_b32_e32 v4, v5, v4, vcc
	v_xor_b32_e32 v5, s42, v7
	v_cndmask_b32_e32 v3, v6, v8, vcc
	v_xor_b32_e32 v4, v4, v5
	v_xor_b32_e32 v3, v3, v5
	v_sub_co_u32_e32 v4, vcc, v4, v5
	v_subb_co_u32_e32 v5, vcc, v3, v5, vcc
.LBB0_5:                                ;   in Loop: Header=BB0_3 Depth=1
	s_andn2_saveexec_b64 s[0:1], s[2:3]
	s_cbranch_execz .LBB0_7
; %bb.6:                                ;   in Loop: Header=BB0_3 Depth=1
	v_cvt_f32_u32_e32 v3, s48
	s_sub_i32 s2, 0, s48
	v_rcp_iflag_f32_e32 v3, v3
	v_mul_f32_e32 v3, 0x4f7ffffe, v3
	v_cvt_u32_f32_e32 v3, v3
	v_mul_lo_u32 v4, s2, v3
	v_mul_hi_u32 v4, v3, v4
	v_add_u32_e32 v3, v3, v4
	v_mul_hi_u32 v3, v0, v3
	v_mul_lo_u32 v4, v3, s48
	v_add_u32_e32 v5, 1, v3
	v_sub_u32_e32 v4, v0, v4
	v_subrev_u32_e32 v6, s48, v4
	v_cmp_le_u32_e32 vcc, s48, v4
	v_cndmask_b32_e32 v4, v4, v6, vcc
	v_cndmask_b32_e32 v3, v3, v5, vcc
	v_add_u32_e32 v5, 1, v3
	v_cmp_le_u32_e32 vcc, s48, v4
	v_cndmask_b32_e32 v4, v3, v5, vcc
	v_mov_b32_e32 v5, v2
.LBB0_7:                                ;   in Loop: Header=BB0_3 Depth=1
	s_or_b64 exec, exec, s[0:1]
	v_or_b32_e32 v3, s49, v5
	v_cmp_ne_u64_e32 vcc, 0, v[2:3]
                                        ; implicit-def: $vgpr6_vgpr7
	s_and_saveexec_b64 s[0:1], vcc
	s_xor_b64 s[2:3], exec, s[0:1]
	s_cbranch_execz .LBB0_9
; %bb.8:                                ;   in Loop: Header=BB0_3 Depth=1
	s_ashr_i32 s4, s49, 31
	s_add_u32 s0, s50, s4
	s_mov_b32 s5, s4
	s_addc_u32 s1, s49, s4
	s_xor_b64 s[44:45], s[0:1], s[4:5]
	v_cvt_f32_u32_e32 v3, s44
	v_cvt_f32_u32_e32 v6, s45
	s_sub_u32 s5, 0, s44
	s_subb_u32 s43, 0, s45
	v_mac_f32_e32 v3, 0x4f800000, v6
	v_rcp_f32_e32 v3, v3
	v_mul_f32_e32 v3, 0x5f7ffffc, v3
	v_mul_f32_e32 v6, 0x2f800000, v3
	v_trunc_f32_e32 v6, v6
	v_mac_f32_e32 v3, 0xcf800000, v6
	v_cvt_u32_f32_e32 v6, v6
	v_cvt_u32_f32_e32 v3, v3
	v_readfirstlane_b32 s46, v6
	v_readfirstlane_b32 s0, v3
	s_mul_i32 s1, s5, s46
	s_mul_hi_u32 s56, s5, s0
	s_mul_i32 s47, s43, s0
	s_add_i32 s1, s56, s1
	s_add_i32 s1, s1, s47
	s_mul_i32 s57, s5, s0
	s_mul_i32 s56, s0, s1
	s_mul_hi_u32 s58, s0, s57
	s_mul_hi_u32 s47, s0, s1
	s_add_u32 s56, s58, s56
	s_addc_u32 s47, 0, s47
	s_mul_hi_u32 s59, s46, s57
	s_mul_i32 s57, s46, s57
	s_add_u32 s56, s56, s57
	s_mul_hi_u32 s58, s46, s1
	s_addc_u32 s47, s47, s59
	s_addc_u32 s56, s58, 0
	s_mul_i32 s1, s46, s1
	s_add_u32 s1, s47, s1
	s_addc_u32 s47, 0, s56
	s_add_u32 s56, s0, s1
	s_cselect_b64 s[0:1], -1, 0
	s_cmp_lg_u64 s[0:1], 0
	s_addc_u32 s46, s46, s47
	s_mul_i32 s0, s5, s46
	s_mul_hi_u32 s1, s5, s56
	s_add_i32 s0, s1, s0
	s_mul_i32 s43, s43, s56
	s_add_i32 s0, s0, s43
	s_mul_i32 s5, s5, s56
	s_mul_hi_u32 s43, s46, s5
	s_mul_i32 s47, s46, s5
	s_mul_i32 s58, s56, s0
	s_mul_hi_u32 s5, s56, s5
	s_mul_hi_u32 s57, s56, s0
	s_add_u32 s5, s5, s58
	s_addc_u32 s57, 0, s57
	s_add_u32 s5, s5, s47
	s_mul_hi_u32 s1, s46, s0
	s_addc_u32 s5, s57, s43
	s_addc_u32 s1, s1, 0
	s_mul_i32 s0, s46, s0
	s_add_u32 s0, s5, s0
	s_addc_u32 s5, 0, s1
	s_add_u32 s43, s56, s0
	s_cselect_b64 s[0:1], -1, 0
	v_ashrrev_i32_e32 v3, 31, v5
	s_cmp_lg_u64 s[0:1], 0
	v_add_co_u32_e32 v6, vcc, v4, v3
	s_addc_u32 s5, s46, s5
	v_xor_b32_e32 v10, v6, v3
	v_mad_u64_u32 v[6:7], s[0:1], v10, s5, 0
	v_mul_hi_u32 v9, v10, s43
	v_addc_co_u32_e32 v8, vcc, v5, v3, vcc
	v_xor_b32_e32 v11, v8, v3
	v_add_co_u32_e32 v12, vcc, v9, v6
	v_addc_co_u32_e32 v13, vcc, 0, v7, vcc
	v_mad_u64_u32 v[6:7], s[0:1], v11, s43, 0
	v_mad_u64_u32 v[8:9], s[0:1], v11, s5, 0
	v_add_co_u32_e32 v6, vcc, v12, v6
	v_addc_co_u32_e32 v6, vcc, v13, v7, vcc
	v_addc_co_u32_e32 v7, vcc, 0, v9, vcc
	v_add_co_u32_e32 v8, vcc, v6, v8
	v_addc_co_u32_e32 v9, vcc, 0, v7, vcc
	v_mul_lo_u32 v12, s45, v8
	v_mul_lo_u32 v13, s44, v9
	v_mad_u64_u32 v[6:7], s[0:1], s44, v8, 0
	v_xor_b32_e32 v3, s4, v3
	v_add3_u32 v7, v7, v13, v12
	v_sub_u32_e32 v12, v11, v7
	v_mov_b32_e32 v13, s45
	v_sub_co_u32_e32 v6, vcc, v10, v6
	v_subb_co_u32_e64 v10, s[0:1], v12, v13, vcc
	v_subrev_co_u32_e64 v12, s[0:1], s44, v6
	v_subbrev_co_u32_e64 v10, s[0:1], 0, v10, s[0:1]
	v_cmp_le_u32_e64 s[0:1], s45, v10
	v_cndmask_b32_e64 v13, 0, -1, s[0:1]
	v_cmp_le_u32_e64 s[0:1], s44, v12
	v_cndmask_b32_e64 v12, 0, -1, s[0:1]
	v_cmp_eq_u32_e64 s[0:1], s45, v10
	v_cndmask_b32_e64 v10, v13, v12, s[0:1]
	v_add_co_u32_e64 v12, s[0:1], 2, v8
	v_subb_co_u32_e32 v7, vcc, v11, v7, vcc
	v_addc_co_u32_e64 v13, s[0:1], 0, v9, s[0:1]
	v_cmp_le_u32_e32 vcc, s45, v7
	v_add_co_u32_e64 v14, s[0:1], 1, v8
	v_cndmask_b32_e64 v11, 0, -1, vcc
	v_cmp_le_u32_e32 vcc, s44, v6
	v_addc_co_u32_e64 v15, s[0:1], 0, v9, s[0:1]
	v_cndmask_b32_e64 v6, 0, -1, vcc
	v_cmp_eq_u32_e32 vcc, s45, v7
	v_cmp_ne_u32_e64 s[0:1], 0, v10
	v_cndmask_b32_e32 v6, v11, v6, vcc
	v_cndmask_b32_e64 v10, v15, v13, s[0:1]
	v_cmp_ne_u32_e32 vcc, 0, v6
	v_cndmask_b32_e64 v7, v14, v12, s[0:1]
	v_cndmask_b32_e32 v6, v9, v10, vcc
	v_cndmask_b32_e32 v7, v8, v7, vcc
	v_xor_b32_e32 v8, v6, v3
	v_xor_b32_e32 v6, v7, v3
	v_sub_co_u32_e32 v6, vcc, v6, v3
	v_subb_co_u32_e32 v7, vcc, v8, v3, vcc
.LBB0_9:                                ;   in Loop: Header=BB0_3 Depth=1
	s_andn2_saveexec_b64 s[0:1], s[2:3]
	s_cbranch_execz .LBB0_11
; %bb.10:                               ;   in Loop: Header=BB0_3 Depth=1
	v_cvt_f32_u32_e32 v3, s50
	s_sub_i32 s2, 0, s50
	v_rcp_iflag_f32_e32 v3, v3
	v_mul_f32_e32 v3, 0x4f7ffffe, v3
	v_cvt_u32_f32_e32 v3, v3
	v_mul_lo_u32 v6, s2, v3
	v_mul_hi_u32 v6, v3, v6
	v_add_u32_e32 v3, v3, v6
	v_mul_hi_u32 v3, v4, v3
	v_mul_lo_u32 v6, v3, s50
	v_add_u32_e32 v7, 1, v3
	v_sub_u32_e32 v6, v4, v6
	v_subrev_u32_e32 v8, s50, v6
	v_cmp_le_u32_e32 vcc, s50, v6
	v_cndmask_b32_e32 v6, v6, v8, vcc
	v_cndmask_b32_e32 v3, v3, v7, vcc
	v_add_u32_e32 v7, 1, v3
	v_cmp_le_u32_e32 vcc, s50, v6
	v_cndmask_b32_e32 v6, v3, v7, vcc
	v_mov_b32_e32 v7, v2
.LBB0_11:                               ;   in Loop: Header=BB0_3 Depth=1
	s_or_b64 exec, exec, s[0:1]
	v_or_b32_e32 v3, s51, v7
	v_cmp_ne_u64_e32 vcc, 0, v[2:3]
                                        ; implicit-def: $vgpr8_vgpr9
	s_and_saveexec_b64 s[0:1], vcc
	s_xor_b64 s[2:3], exec, s[0:1]
	s_cbranch_execnz .LBB0_14
; %bb.12:                               ;   in Loop: Header=BB0_3 Depth=1
	s_andn2_saveexec_b64 s[0:1], s[2:3]
	s_cbranch_execnz .LBB0_15
.LBB0_13:                               ;   in Loop: Header=BB0_3 Depth=1
	s_or_b64 exec, exec, s[0:1]
	s_andn2_b64 vcc, exec, s[6:7]
	s_cbranch_vccz .LBB0_16
	s_branch .LBB0_2
.LBB0_14:                               ;   in Loop: Header=BB0_3 Depth=1
	s_ashr_i32 s4, s51, 31
	s_add_u32 s0, s23, s4
	s_mov_b32 s5, s4
	s_addc_u32 s1, s51, s4
	s_xor_b64 s[44:45], s[0:1], s[4:5]
	v_cvt_f32_u32_e32 v3, s44
	v_cvt_f32_u32_e32 v8, s45
	s_sub_u32 s5, 0, s44
	s_subb_u32 s43, 0, s45
	v_mac_f32_e32 v3, 0x4f800000, v8
	v_rcp_f32_e32 v3, v3
	v_mul_f32_e32 v3, 0x5f7ffffc, v3
	v_mul_f32_e32 v8, 0x2f800000, v3
	v_trunc_f32_e32 v8, v8
	v_mac_f32_e32 v3, 0xcf800000, v8
	v_cvt_u32_f32_e32 v8, v8
	v_cvt_u32_f32_e32 v3, v3
	v_readfirstlane_b32 s46, v8
	v_readfirstlane_b32 s0, v3
	s_mul_i32 s1, s5, s46
	s_mul_hi_u32 s56, s5, s0
	s_mul_i32 s47, s43, s0
	s_add_i32 s1, s56, s1
	s_add_i32 s1, s1, s47
	s_mul_i32 s57, s5, s0
	s_mul_i32 s56, s0, s1
	s_mul_hi_u32 s58, s0, s57
	s_mul_hi_u32 s47, s0, s1
	s_add_u32 s56, s58, s56
	s_addc_u32 s47, 0, s47
	s_mul_hi_u32 s59, s46, s57
	s_mul_i32 s57, s46, s57
	s_add_u32 s56, s56, s57
	s_mul_hi_u32 s58, s46, s1
	s_addc_u32 s47, s47, s59
	s_addc_u32 s56, s58, 0
	s_mul_i32 s1, s46, s1
	s_add_u32 s1, s47, s1
	s_addc_u32 s47, 0, s56
	s_add_u32 s56, s0, s1
	s_cselect_b64 s[0:1], -1, 0
	s_cmp_lg_u64 s[0:1], 0
	s_addc_u32 s46, s46, s47
	s_mul_i32 s0, s5, s46
	s_mul_hi_u32 s1, s5, s56
	s_add_i32 s0, s1, s0
	s_mul_i32 s43, s43, s56
	s_add_i32 s0, s0, s43
	s_mul_i32 s5, s5, s56
	s_mul_hi_u32 s43, s46, s5
	s_mul_i32 s47, s46, s5
	s_mul_i32 s58, s56, s0
	s_mul_hi_u32 s5, s56, s5
	s_mul_hi_u32 s57, s56, s0
	s_add_u32 s5, s5, s58
	s_addc_u32 s57, 0, s57
	s_add_u32 s5, s5, s47
	s_mul_hi_u32 s1, s46, s0
	s_addc_u32 s5, s57, s43
	s_addc_u32 s1, s1, 0
	s_mul_i32 s0, s46, s0
	s_add_u32 s0, s5, s0
	s_addc_u32 s5, 0, s1
	s_add_u32 s43, s56, s0
	s_cselect_b64 s[0:1], -1, 0
	v_ashrrev_i32_e32 v3, 31, v7
	s_cmp_lg_u64 s[0:1], 0
	v_add_co_u32_e32 v8, vcc, v6, v3
	s_addc_u32 s5, s46, s5
	v_xor_b32_e32 v11, v8, v3
	v_addc_co_u32_e32 v9, vcc, v7, v3, vcc
	v_mad_u64_u32 v[7:8], s[0:1], v11, s5, 0
	v_mul_hi_u32 v10, v11, s43
	v_xor_b32_e32 v12, v9, v3
	v_xor_b32_e32 v3, s4, v3
	v_add_co_u32_e32 v13, vcc, v10, v7
	v_addc_co_u32_e32 v14, vcc, 0, v8, vcc
	v_mad_u64_u32 v[7:8], s[0:1], v12, s43, 0
	v_mad_u64_u32 v[9:10], s[0:1], v12, s5, 0
	v_add_co_u32_e32 v7, vcc, v13, v7
	v_addc_co_u32_e32 v7, vcc, v14, v8, vcc
	v_addc_co_u32_e32 v8, vcc, 0, v10, vcc
	v_add_co_u32_e32 v9, vcc, v7, v9
	v_addc_co_u32_e32 v7, vcc, 0, v8, vcc
	v_mul_lo_u32 v10, s45, v9
	v_mul_lo_u32 v13, s44, v7
	v_mad_u64_u32 v[7:8], s[0:1], s44, v9, 0
	v_add3_u32 v8, v8, v13, v10
	v_sub_u32_e32 v10, v12, v8
	v_mov_b32_e32 v13, s45
	v_sub_co_u32_e32 v7, vcc, v11, v7
	v_subb_co_u32_e64 v10, s[0:1], v10, v13, vcc
	v_subrev_co_u32_e64 v11, s[0:1], s44, v7
	v_subbrev_co_u32_e64 v10, s[0:1], 0, v10, s[0:1]
	v_cmp_le_u32_e64 s[0:1], s45, v10
	v_subb_co_u32_e32 v8, vcc, v12, v8, vcc
	v_cndmask_b32_e64 v13, 0, -1, s[0:1]
	v_cmp_le_u32_e64 s[0:1], s44, v11
	v_cmp_le_u32_e32 vcc, s45, v8
	v_cndmask_b32_e64 v11, 0, -1, s[0:1]
	v_cmp_eq_u32_e64 s[0:1], s45, v10
	v_cndmask_b32_e64 v12, 0, -1, vcc
	v_cmp_le_u32_e32 vcc, s44, v7
	v_cndmask_b32_e64 v10, v13, v11, s[0:1]
	v_cndmask_b32_e64 v7, 0, -1, vcc
	v_cmp_eq_u32_e32 vcc, s45, v8
	v_add_co_u32_e64 v11, s[0:1], 2, v9
	v_add_co_u32_e64 v13, s[0:1], 1, v9
	v_cndmask_b32_e32 v7, v12, v7, vcc
	v_cmp_ne_u32_e32 vcc, 0, v10
	v_cndmask_b32_e32 v8, v13, v11, vcc
	v_cmp_ne_u32_e32 vcc, 0, v7
	v_cndmask_b32_e32 v7, v9, v8, vcc
	v_xor_b32_e32 v7, v7, v3
	v_sub_co_u32_e32 v8, vcc, v7, v3
	s_andn2_saveexec_b64 s[0:1], s[2:3]
	s_cbranch_execz .LBB0_13
.LBB0_15:                               ;   in Loop: Header=BB0_3 Depth=1
	v_cvt_f32_u32_e32 v3, s23
	s_sub_i32 s2, 0, s23
	v_rcp_iflag_f32_e32 v3, v3
	v_mul_f32_e32 v3, 0x4f7ffffe, v3
	v_cvt_u32_f32_e32 v3, v3
	v_mul_lo_u32 v7, s2, v3
	v_mul_hi_u32 v7, v3, v7
	v_add_u32_e32 v3, v3, v7
	v_mul_hi_u32 v3, v6, v3
	v_mul_lo_u32 v7, v3, s23
	v_add_u32_e32 v8, 1, v3
	v_sub_u32_e32 v7, v6, v7
	v_subrev_u32_e32 v9, s23, v7
	v_cmp_le_u32_e32 vcc, s23, v7
	v_cndmask_b32_e32 v7, v7, v9, vcc
	v_cndmask_b32_e32 v3, v3, v8, vcc
	v_add_u32_e32 v8, 1, v3
	v_cmp_le_u32_e32 vcc, s23, v7
	v_cndmask_b32_e32 v8, v3, v8, vcc
	s_or_b64 exec, exec, s[0:1]
	s_andn2_b64 vcc, exec, s[6:7]
	s_cbranch_vccnz .LBB0_2
.LBB0_16:                               ;   in Loop: Header=BB0_3 Depth=1
	v_mul_lo_u32 v3, v8, s23
	v_mul_lo_u32 v7, v6, s50
	;; [unrolled: 1-line block ×3, first 2 shown]
	v_mad_u64_u32 v[9:10], s[0:1], v4, s48, 0
	v_sub_u32_e32 v6, v6, v3
	v_mul_lo_u32 v3, s17, v6
	v_sub_u32_e32 v7, v4, v7
	v_mul_lo_u32 v4, s18, v7
	v_mul_lo_u32 v5, v5, s48
	v_subrev_u32_e32 v3, s14, v3
	s_mov_b32 s43, 0
	v_mad_u64_u32 v[11:12], s[0:1], s8, v8, v[3:4]
	v_add3_u32 v5, v10, v13, v5
	v_subrev_u32_e32 v4, s15, v4
	v_mad_u64_u32 v[10:11], s[0:1], v11, s9, v[4:5]
	v_sub_co_u32_e32 v11, vcc, v0, v9
	v_mul_lo_u32 v9, v10, s10
	v_mad_u64_u32 v[13:14], s[0:1], s52, v8, v[6:7]
	v_subb_co_u32_e32 v12, vcc, v1, v5, vcc
	v_ashrrev_i32_e32 v10, 31, v9
	v_lshlrev_b64 v[8:9], 2, v[9:10]
	v_mul_lo_u32 v5, s19, v11
	v_mad_u64_u32 v[13:14], s[0:1], v13, s28, v[7:8]
	v_mov_b32_e32 v6, s27
	v_subrev_u32_e32 v5, s16, v5
	v_add_co_u32_e32 v8, vcc, s26, v8
	v_mul_lo_u32 v13, v13, s29
	v_addc_co_u32_e32 v9, vcc, v6, v9, vcc
	v_ashrrev_i32_e32 v6, 31, v5
	v_lshlrev_b64 v[6:7], 2, v[5:6]
	v_ashrrev_i32_e32 v14, 31, v13
	v_add_co_u32_e32 v8, vcc, v8, v6
	v_addc_co_u32_e32 v9, vcc, v9, v7, vcc
	v_lshlrev_b64 v[6:7], 2, v[13:14]
	v_mov_b32_e32 v13, s31
	v_lshlrev_b64 v[10:11], 2, v[11:12]
	v_add_co_u32_e32 v6, vcc, s30, v6
	v_addc_co_u32_e32 v7, vcc, v13, v7, vcc
	v_and_b32_e32 v11, 3, v11
	v_add_co_u32_e32 v6, vcc, v6, v10
	v_addc_co_u32_e32 v7, vcc, v7, v11, vcc
	s_mov_b32 s56, 0
	s_branch .LBB0_18
.LBB0_17:                               ;   in Loop: Header=BB0_18 Depth=2
	s_add_i32 s56, s56, 1
	s_add_i32 s43, s43, s54
	s_cmp_eq_u32 s56, s11
	s_cbranch_scc1 .LBB0_2
.LBB0_18:                               ;   Parent Loop BB0_3 Depth=1
                                        ; =>  This Loop Header: Depth=2
                                        ;       Child Loop BB0_21 Depth 3
                                        ;         Child Loop BB0_24 Depth 4
	s_andn2_b64 vcc, exec, s[34:35]
	s_cbranch_vccnz .LBB0_17
; %bb.19:                               ;   in Loop: Header=BB0_18 Depth=2
	s_mul_i32 s0, s56, s20
	v_add_u32_e32 v10, s0, v3
	v_cmp_lt_i32_e64 s[0:1], -1, v10
	v_cmp_gt_i32_e64 s[2:3], s8, v10
	s_mov_b32 s57, 0
	s_mov_b32 s58, s43
	s_branch .LBB0_21
.LBB0_20:                               ;   in Loop: Header=BB0_21 Depth=3
	s_add_i32 s57, s57, 1
	s_add_i32 s58, s58, s55
	s_cmp_eq_u32 s57, s12
	s_cbranch_scc1 .LBB0_17
.LBB0_21:                               ;   Parent Loop BB0_3 Depth=1
                                        ;     Parent Loop BB0_18 Depth=2
                                        ; =>    This Loop Header: Depth=3
                                        ;         Child Loop BB0_24 Depth 4
	s_andn2_b64 vcc, exec, s[36:37]
	s_cbranch_vccnz .LBB0_20
; %bb.22:                               ;   in Loop: Header=BB0_21 Depth=3
	s_mul_i32 s4, s57, s21
	v_add_u32_e32 v10, s4, v4
	v_cmp_lt_i32_e32 vcc, -1, v10
	s_and_b64 s[44:45], s[0:1], vcc
	v_cmp_gt_i32_e32 vcc, s9, v10
	s_mov_b32 s59, 0
	s_mov_b32 s60, s13
	s_branch .LBB0_24
.LBB0_23:                               ;   in Loop: Header=BB0_24 Depth=4
	s_or_b64 exec, exec, s[46:47]
	s_waitcnt vmcnt(0)
	global_store_dword v[6:7], v10, off
	v_mov_b32_e32 v10, s39
	s_add_i32 s60, s60, -1
	s_add_i32 s59, s59, s22
	v_add_co_u32_e64 v6, s[4:5], s38, v6
	s_cmp_eq_u32 s60, 0
	v_addc_co_u32_e64 v7, s[4:5], v7, v10, s[4:5]
	s_cbranch_scc1 .LBB0_20
.LBB0_24:                               ;   Parent Loop BB0_3 Depth=1
                                        ;     Parent Loop BB0_18 Depth=2
                                        ;       Parent Loop BB0_21 Depth=3
                                        ; =>      This Inner Loop Header: Depth=4
	v_add_u32_e32 v10, s59, v5
	v_cmp_lt_i32_e64 s[4:5], -1, v10
	s_and_b64 s[4:5], s[44:45], s[4:5]
	s_and_b64 s[4:5], s[2:3], s[4:5]
	s_and_b64 s[46:47], s[4:5], vcc
	v_cmp_gt_i32_e64 s[4:5], s10, v10
	s_and_b64 s[4:5], s[46:47], s[4:5]
	v_mov_b32_e32 v10, 0
	s_and_saveexec_b64 s[46:47], s[4:5]
	s_cbranch_execz .LBB0_23
; %bb.25:                               ;   in Loop: Header=BB0_24 Depth=4
	s_add_i32 s4, s58, s59
	s_ashr_i32 s5, s4, 31
	s_lshl_b64 s[4:5], s[4:5], 2
	v_mov_b32_e32 v11, s5
	v_add_co_u32_e64 v10, s[4:5], s4, v8
	v_addc_co_u32_e64 v11, s[4:5], v9, v11, s[4:5]
	global_load_dword v10, v[10:11], off
	s_branch .LBB0_23
.LBB0_26:
	s_endpgm
	.section	.rodata,"a",@progbits
	.p2align	6, 0x0
	.amdhsa_kernel _Z14vol2col_kernelIfEvlPKT_iiiiiiiiiiiiiiiiiiPS0_
		.amdhsa_group_segment_fixed_size 0
		.amdhsa_private_segment_fixed_size 0
		.amdhsa_kernarg_size 352
		.amdhsa_user_sgpr_count 6
		.amdhsa_user_sgpr_private_segment_buffer 1
		.amdhsa_user_sgpr_dispatch_ptr 0
		.amdhsa_user_sgpr_queue_ptr 0
		.amdhsa_user_sgpr_kernarg_segment_ptr 1
		.amdhsa_user_sgpr_dispatch_id 0
		.amdhsa_user_sgpr_flat_scratch_init 0
		.amdhsa_user_sgpr_private_segment_size 0
		.amdhsa_uses_dynamic_stack 0
		.amdhsa_system_sgpr_private_segment_wavefront_offset 0
		.amdhsa_system_sgpr_workgroup_id_x 1
		.amdhsa_system_sgpr_workgroup_id_y 0
		.amdhsa_system_sgpr_workgroup_id_z 0
		.amdhsa_system_sgpr_workgroup_info 0
		.amdhsa_system_vgpr_workitem_id 0
		.amdhsa_next_free_vgpr 16
		.amdhsa_next_free_sgpr 61
		.amdhsa_reserve_vcc 1
		.amdhsa_reserve_flat_scratch 0
		.amdhsa_float_round_mode_32 0
		.amdhsa_float_round_mode_16_64 0
		.amdhsa_float_denorm_mode_32 3
		.amdhsa_float_denorm_mode_16_64 3
		.amdhsa_dx10_clamp 1
		.amdhsa_ieee_mode 1
		.amdhsa_fp16_overflow 0
		.amdhsa_exception_fp_ieee_invalid_op 0
		.amdhsa_exception_fp_denorm_src 0
		.amdhsa_exception_fp_ieee_div_zero 0
		.amdhsa_exception_fp_ieee_overflow 0
		.amdhsa_exception_fp_ieee_underflow 0
		.amdhsa_exception_fp_ieee_inexact 0
		.amdhsa_exception_int_div_zero 0
	.end_amdhsa_kernel
	.section	.text._Z14vol2col_kernelIfEvlPKT_iiiiiiiiiiiiiiiiiiPS0_,"axG",@progbits,_Z14vol2col_kernelIfEvlPKT_iiiiiiiiiiiiiiiiiiPS0_,comdat
.Lfunc_end0:
	.size	_Z14vol2col_kernelIfEvlPKT_iiiiiiiiiiiiiiiiiiPS0_, .Lfunc_end0-_Z14vol2col_kernelIfEvlPKT_iiiiiiiiiiiiiiiiiiPS0_
                                        ; -- End function
	.set _Z14vol2col_kernelIfEvlPKT_iiiiiiiiiiiiiiiiiiPS0_.num_vgpr, 16
	.set _Z14vol2col_kernelIfEvlPKT_iiiiiiiiiiiiiiiiiiPS0_.num_agpr, 0
	.set _Z14vol2col_kernelIfEvlPKT_iiiiiiiiiiiiiiiiiiPS0_.numbered_sgpr, 61
	.set _Z14vol2col_kernelIfEvlPKT_iiiiiiiiiiiiiiiiiiPS0_.num_named_barrier, 0
	.set _Z14vol2col_kernelIfEvlPKT_iiiiiiiiiiiiiiiiiiPS0_.private_seg_size, 0
	.set _Z14vol2col_kernelIfEvlPKT_iiiiiiiiiiiiiiiiiiPS0_.uses_vcc, 1
	.set _Z14vol2col_kernelIfEvlPKT_iiiiiiiiiiiiiiiiiiPS0_.uses_flat_scratch, 0
	.set _Z14vol2col_kernelIfEvlPKT_iiiiiiiiiiiiiiiiiiPS0_.has_dyn_sized_stack, 0
	.set _Z14vol2col_kernelIfEvlPKT_iiiiiiiiiiiiiiiiiiPS0_.has_recursion, 0
	.set _Z14vol2col_kernelIfEvlPKT_iiiiiiiiiiiiiiiiiiPS0_.has_indirect_call, 0
	.section	.AMDGPU.csdata,"",@progbits
; Kernel info:
; codeLenInByte = 2920
; TotalNumSgprs: 65
; NumVgprs: 16
; ScratchSize: 0
; MemoryBound: 0
; FloatMode: 240
; IeeeMode: 1
; LDSByteSize: 0 bytes/workgroup (compile time only)
; SGPRBlocks: 8
; VGPRBlocks: 3
; NumSGPRsForWavesPerEU: 65
; NumVGPRsForWavesPerEU: 16
; Occupancy: 10
; WaveLimiterHint : 0
; COMPUTE_PGM_RSRC2:SCRATCH_EN: 0
; COMPUTE_PGM_RSRC2:USER_SGPR: 6
; COMPUTE_PGM_RSRC2:TRAP_HANDLER: 0
; COMPUTE_PGM_RSRC2:TGID_X_EN: 1
; COMPUTE_PGM_RSRC2:TGID_Y_EN: 0
; COMPUTE_PGM_RSRC2:TGID_Z_EN: 0
; COMPUTE_PGM_RSRC2:TIDIG_COMP_CNT: 0
	.section	.text._Z14col2vol_kernelIffEvlPKT_iiiiiiiiiiiiiiiiiiPS0_,"axG",@progbits,_Z14col2vol_kernelIffEvlPKT_iiiiiiiiiiiiiiiiiiPS0_,comdat
	.protected	_Z14col2vol_kernelIffEvlPKT_iiiiiiiiiiiiiiiiiiPS0_ ; -- Begin function _Z14col2vol_kernelIffEvlPKT_iiiiiiiiiiiiiiiiiiPS0_
	.globl	_Z14col2vol_kernelIffEvlPKT_iiiiiiiiiiiiiiiiiiPS0_
	.p2align	8
	.type	_Z14col2vol_kernelIffEvlPKT_iiiiiiiiiiiiiiiiiiPS0_,@function
_Z14col2vol_kernelIffEvlPKT_iiiiiiiiiiiiiiiiiiPS0_: ; @_Z14col2vol_kernelIffEvlPKT_iiiiiiiiiiiiiiiiiiPS0_
; %bb.0:
	s_load_dword s2, s[4:5], 0x6c
	s_load_dwordx4 s[24:27], s[4:5], 0x0
	s_add_u32 s0, s4, 0x60
	s_addc_u32 s1, s5, 0
	v_mov_b32_e32 v2, 0
	s_waitcnt lgkmcnt(0)
	s_and_b32 s2, s2, 0xffff
	s_mul_i32 s6, s6, s2
	v_add_u32_e32 v0, s6, v0
	v_mov_b32_e32 v1, v2
	v_cmp_gt_i64_e32 vcc, s[24:25], v[0:1]
	s_and_saveexec_b64 s[6:7], vcc
	s_cbranch_execz .LBB1_55
; %bb.1:
	s_load_dwordx16 s[8:23], s[4:5], 0x10
	s_load_dwordx4 s[28:31], s[4:5], 0x50
	s_load_dword s3, s[0:1], 0x0
	s_waitcnt lgkmcnt(0)
	s_abs_i32 s76, s19
	v_cvt_f32_u32_e32 v3, s76
	s_abs_i32 s81, s18
	v_cvt_f32_u32_e32 v4, s81
	s_abs_i32 s82, s17
	v_rcp_iflag_f32_e32 v3, v3
	v_cvt_f32_u32_e32 v5, s82
	v_rcp_iflag_f32_e32 v4, v4
	s_sub_i32 s4, 0, s76
	v_mul_f32_e32 v3, 0x4f7ffffe, v3
	v_rcp_iflag_f32_e32 v5, v5
	v_cvt_u32_f32_e32 v3, v3
	v_mul_f32_e32 v4, 0x4f7ffffe, v4
	v_cvt_u32_f32_e32 v4, v4
	v_mul_f32_e32 v5, 0x4f7ffffe, v5
	v_mul_lo_u32 v6, s4, v3
	v_cvt_u32_f32_e32 v5, v5
	s_mul_i32 s83, s3, s2
	s_sub_i32 s2, 0, s81
	v_mul_lo_u32 v7, s2, v4
	s_sub_i32 s2, 0, s82
	v_mul_hi_u32 v6, v3, v6
	v_mul_lo_u32 v8, s2, v5
	s_mul_i32 s0, s9, s10
	s_mul_i32 s59, s0, s8
	s_add_i32 s0, s13, -1
	v_mul_hi_u32 v7, v4, v7
	v_add_u32_e32 v21, v3, v6
	v_mul_hi_u32 v3, v5, v8
	s_mul_i32 s61, s22, s0
	s_add_i32 s0, s12, -1
	s_mul_i32 s62, s21, s0
	s_add_i32 s0, s11, -1
	s_mul_i32 s64, s20, s0
	s_ashr_i32 s1, s29, 31
	s_mov_b32 s0, s29
	s_ashr_i32 s33, s10, 31
	s_mov_b32 s56, s10
	s_ashr_i32 s57, s9, 31
	s_ashr_i32 s58, s8, 31
	;; [unrolled: 1-line block ×3, first 2 shown]
	s_not_b32 s63, s62
	s_not_b32 s65, s64
	;; [unrolled: 1-line block ×3, first 2 shown]
	s_ashr_i32 s67, s20, 31
	s_mov_b32 s68, s20
	s_ashr_i32 s69, s21, 31
	s_mov_b32 s70, s21
	s_ashr_i32 s71, s22, 31
	s_ashr_i32 s72, s12, 31
	s_mov_b32 s73, s12
	s_ashr_i32 s74, s13, 31
	s_mov_b32 s75, s13
	;; [unrolled: 2-line block ×4, first 2 shown]
	s_ashr_i32 s84, s19, 31
	s_ashr_i32 s85, s18, 31
	v_add_u32_e32 v22, v4, v7
	s_ashr_i32 s86, s17, 31
	v_add_u32_e32 v23, v5, v3
	s_lshl_b64 s[12:13], s[0:1], 2
	s_mov_b64 s[20:21], 0
	s_branch .LBB1_4
.LBB1_2:                                ;   in Loop: Header=BB1_4 Depth=1
	s_or_b64 exec, exec, s[36:37]
.LBB1_3:                                ;   in Loop: Header=BB1_4 Depth=1
	s_or_b64 exec, exec, s[34:35]
	v_lshlrev_b64 v[3:4], 2, v[0:1]
	v_add_co_u32_e32 v0, vcc, s83, v0
	v_addc_co_u32_e32 v1, vcc, 0, v1, vcc
	v_cmp_le_i64_e32 vcc, s[24:25], v[0:1]
	v_mov_b32_e32 v5, s31
	v_add_co_u32_e64 v3, s[0:1], s30, v3
	v_addc_co_u32_e64 v4, s[0:1], v5, v4, s[0:1]
	s_or_b64 s[20:21], vcc, s[20:21]
	global_store_dword v[3:4], v8, off
	s_andn2_b64 exec, exec, s[20:21]
	s_cbranch_execz .LBB1_55
.LBB1_4:                                ; =>This Loop Header: Depth=1
                                        ;     Child Loop BB1_30 Depth 2
                                        ;       Child Loop BB1_34 Depth 3
                                        ;         Child Loop BB1_43 Depth 4
	v_or_b32_e32 v3, s33, v1
	v_cmp_ne_u64_e32 vcc, 0, v[2:3]
	v_ashrrev_i32_e32 v12, 31, v1
                                        ; implicit-def: $vgpr4_vgpr5
	s_and_saveexec_b64 s[0:1], vcc
	s_xor_b64 s[2:3], exec, s[0:1]
	s_cbranch_execz .LBB1_6
; %bb.5:                                ;   in Loop: Header=BB1_4 Depth=1
	s_ashr_i32 s4, s33, 31
	s_add_u32 s0, s56, s4
	s_mov_b32 s5, s4
	s_addc_u32 s1, s33, s4
	s_xor_b64 s[6:7], s[0:1], s[4:5]
	v_cvt_f32_u32_e32 v3, s6
	v_cvt_f32_u32_e32 v4, s7
	s_sub_u32 s5, 0, s6
	s_subb_u32 s34, 0, s7
	v_mac_f32_e32 v3, 0x4f800000, v4
	v_rcp_f32_e32 v3, v3
	v_mul_f32_e32 v3, 0x5f7ffffc, v3
	v_mul_f32_e32 v4, 0x2f800000, v3
	v_trunc_f32_e32 v4, v4
	v_mac_f32_e32 v3, 0xcf800000, v4
	v_cvt_u32_f32_e32 v4, v4
	v_cvt_u32_f32_e32 v3, v3
	v_readfirstlane_b32 s35, v4
	v_readfirstlane_b32 s0, v3
	s_mul_i32 s1, s5, s35
	s_mul_hi_u32 s37, s5, s0
	s_mul_i32 s36, s34, s0
	s_add_i32 s1, s37, s1
	s_add_i32 s1, s1, s36
	s_mul_i32 s38, s5, s0
	s_mul_i32 s37, s0, s1
	s_mul_hi_u32 s39, s0, s38
	s_mul_hi_u32 s36, s0, s1
	s_add_u32 s37, s39, s37
	s_addc_u32 s36, 0, s36
	s_mul_hi_u32 s40, s35, s38
	s_mul_i32 s38, s35, s38
	s_add_u32 s37, s37, s38
	s_mul_hi_u32 s39, s35, s1
	s_addc_u32 s36, s36, s40
	s_addc_u32 s37, s39, 0
	s_mul_i32 s1, s35, s1
	s_add_u32 s1, s36, s1
	s_addc_u32 s36, 0, s37
	s_add_u32 s37, s0, s1
	s_cselect_b64 s[0:1], -1, 0
	s_cmp_lg_u64 s[0:1], 0
	s_addc_u32 s35, s35, s36
	s_mul_i32 s0, s5, s35
	s_mul_hi_u32 s1, s5, s37
	s_add_i32 s0, s1, s0
	s_mul_i32 s34, s34, s37
	s_add_i32 s0, s0, s34
	s_mul_i32 s5, s5, s37
	s_mul_hi_u32 s34, s35, s5
	s_mul_i32 s36, s35, s5
	s_mul_i32 s39, s37, s0
	s_mul_hi_u32 s5, s37, s5
	s_mul_hi_u32 s38, s37, s0
	s_add_u32 s5, s5, s39
	s_addc_u32 s38, 0, s38
	s_add_u32 s5, s5, s36
	s_mul_hi_u32 s1, s35, s0
	s_addc_u32 s5, s38, s34
	s_addc_u32 s1, s1, 0
	s_mul_i32 s0, s35, s0
	s_add_u32 s0, s5, s0
	s_addc_u32 s5, 0, s1
	s_add_u32 s34, s37, s0
	s_cselect_b64 s[0:1], -1, 0
	s_cmp_lg_u64 s[0:1], 0
	v_add_co_u32_e32 v3, vcc, v0, v12
	s_addc_u32 s5, s35, s5
	v_xor_b32_e32 v7, v3, v12
	v_mad_u64_u32 v[3:4], s[0:1], v7, s5, 0
	v_mul_hi_u32 v6, v7, s34
	v_addc_co_u32_e32 v5, vcc, v1, v12, vcc
	v_xor_b32_e32 v8, v5, v12
	v_add_co_u32_e32 v9, vcc, v6, v3
	v_addc_co_u32_e32 v10, vcc, 0, v4, vcc
	v_mad_u64_u32 v[3:4], s[0:1], v8, s34, 0
	v_mad_u64_u32 v[5:6], s[0:1], v8, s5, 0
	v_add_co_u32_e32 v3, vcc, v9, v3
	v_addc_co_u32_e32 v3, vcc, v10, v4, vcc
	v_addc_co_u32_e32 v4, vcc, 0, v6, vcc
	v_add_co_u32_e32 v5, vcc, v3, v5
	v_addc_co_u32_e32 v6, vcc, 0, v4, vcc
	v_mul_lo_u32 v9, s7, v5
	v_mul_lo_u32 v10, s6, v6
	v_mad_u64_u32 v[3:4], s[0:1], s6, v5, 0
	v_add3_u32 v4, v4, v10, v9
	v_sub_u32_e32 v9, v8, v4
	v_mov_b32_e32 v10, s7
	v_sub_co_u32_e32 v3, vcc, v7, v3
	v_subb_co_u32_e64 v7, s[0:1], v9, v10, vcc
	v_subrev_co_u32_e64 v9, s[0:1], s6, v3
	v_subbrev_co_u32_e64 v7, s[0:1], 0, v7, s[0:1]
	v_cmp_le_u32_e64 s[0:1], s7, v7
	v_cndmask_b32_e64 v10, 0, -1, s[0:1]
	v_cmp_le_u32_e64 s[0:1], s6, v9
	v_cndmask_b32_e64 v9, 0, -1, s[0:1]
	v_cmp_eq_u32_e64 s[0:1], s7, v7
	v_cndmask_b32_e64 v7, v10, v9, s[0:1]
	v_add_co_u32_e64 v9, s[0:1], 2, v5
	v_subb_co_u32_e32 v4, vcc, v8, v4, vcc
	v_addc_co_u32_e64 v10, s[0:1], 0, v6, s[0:1]
	v_cmp_le_u32_e32 vcc, s7, v4
	v_add_co_u32_e64 v11, s[0:1], 1, v5
	v_cndmask_b32_e64 v8, 0, -1, vcc
	v_cmp_le_u32_e32 vcc, s6, v3
	v_addc_co_u32_e64 v13, s[0:1], 0, v6, s[0:1]
	v_cndmask_b32_e64 v3, 0, -1, vcc
	v_cmp_eq_u32_e32 vcc, s7, v4
	v_cmp_ne_u32_e64 s[0:1], 0, v7
	v_cndmask_b32_e32 v3, v8, v3, vcc
	v_cmp_ne_u32_e32 vcc, 0, v3
	v_cndmask_b32_e64 v4, v11, v9, s[0:1]
	v_cndmask_b32_e64 v7, v13, v10, s[0:1]
	v_cndmask_b32_e32 v4, v5, v4, vcc
	v_xor_b32_e32 v5, s4, v12
	v_cndmask_b32_e32 v3, v6, v7, vcc
	v_xor_b32_e32 v4, v4, v5
	v_xor_b32_e32 v3, v3, v5
	v_sub_co_u32_e32 v4, vcc, v4, v5
	v_subb_co_u32_e32 v5, vcc, v3, v5, vcc
.LBB1_6:                                ;   in Loop: Header=BB1_4 Depth=1
	s_andn2_saveexec_b64 s[0:1], s[2:3]
	s_cbranch_execz .LBB1_8
; %bb.7:                                ;   in Loop: Header=BB1_4 Depth=1
	v_cvt_f32_u32_e32 v3, s56
	s_sub_i32 s2, 0, s56
	v_rcp_iflag_f32_e32 v3, v3
	v_mul_f32_e32 v3, 0x4f7ffffe, v3
	v_cvt_u32_f32_e32 v3, v3
	v_mul_lo_u32 v4, s2, v3
	v_mul_hi_u32 v4, v3, v4
	v_add_u32_e32 v3, v3, v4
	v_mul_hi_u32 v3, v0, v3
	v_mul_lo_u32 v4, v3, s56
	v_add_u32_e32 v5, 1, v3
	v_sub_u32_e32 v4, v0, v4
	v_subrev_u32_e32 v6, s56, v4
	v_cmp_le_u32_e32 vcc, s56, v4
	v_cndmask_b32_e32 v4, v4, v6, vcc
	v_cndmask_b32_e32 v3, v3, v5, vcc
	v_add_u32_e32 v5, 1, v3
	v_cmp_le_u32_e32 vcc, s56, v4
	v_cndmask_b32_e32 v4, v3, v5, vcc
	v_mov_b32_e32 v5, v2
.LBB1_8:                                ;   in Loop: Header=BB1_4 Depth=1
	s_or_b64 exec, exec, s[0:1]
	v_or_b32_e32 v3, s57, v5
	v_cmp_ne_u64_e32 vcc, 0, v[2:3]
                                        ; implicit-def: $vgpr6_vgpr7
	s_and_saveexec_b64 s[0:1], vcc
	s_xor_b64 s[2:3], exec, s[0:1]
	s_cbranch_execz .LBB1_10
; %bb.9:                                ;   in Loop: Header=BB1_4 Depth=1
	s_ashr_i32 s4, s57, 31
	s_add_u32 s0, s9, s4
	s_mov_b32 s5, s4
	s_addc_u32 s1, s57, s4
	s_xor_b64 s[6:7], s[0:1], s[4:5]
	v_cvt_f32_u32_e32 v3, s6
	v_cvt_f32_u32_e32 v6, s7
	s_sub_u32 s5, 0, s6
	s_subb_u32 s34, 0, s7
	v_mac_f32_e32 v3, 0x4f800000, v6
	v_rcp_f32_e32 v3, v3
	v_mul_f32_e32 v3, 0x5f7ffffc, v3
	v_mul_f32_e32 v6, 0x2f800000, v3
	v_trunc_f32_e32 v6, v6
	v_mac_f32_e32 v3, 0xcf800000, v6
	v_cvt_u32_f32_e32 v6, v6
	v_cvt_u32_f32_e32 v3, v3
	v_readfirstlane_b32 s35, v6
	v_readfirstlane_b32 s0, v3
	s_mul_i32 s1, s5, s35
	s_mul_hi_u32 s37, s5, s0
	s_mul_i32 s36, s34, s0
	s_add_i32 s1, s37, s1
	s_add_i32 s1, s1, s36
	s_mul_i32 s38, s5, s0
	s_mul_i32 s37, s0, s1
	s_mul_hi_u32 s39, s0, s38
	s_mul_hi_u32 s36, s0, s1
	s_add_u32 s37, s39, s37
	s_addc_u32 s36, 0, s36
	s_mul_hi_u32 s40, s35, s38
	s_mul_i32 s38, s35, s38
	s_add_u32 s37, s37, s38
	s_mul_hi_u32 s39, s35, s1
	s_addc_u32 s36, s36, s40
	s_addc_u32 s37, s39, 0
	s_mul_i32 s1, s35, s1
	s_add_u32 s1, s36, s1
	s_addc_u32 s36, 0, s37
	s_add_u32 s37, s0, s1
	s_cselect_b64 s[0:1], -1, 0
	s_cmp_lg_u64 s[0:1], 0
	s_addc_u32 s35, s35, s36
	s_mul_i32 s0, s5, s35
	s_mul_hi_u32 s1, s5, s37
	s_add_i32 s0, s1, s0
	s_mul_i32 s34, s34, s37
	s_add_i32 s0, s0, s34
	s_mul_i32 s5, s5, s37
	s_mul_hi_u32 s34, s35, s5
	s_mul_i32 s36, s35, s5
	s_mul_i32 s39, s37, s0
	s_mul_hi_u32 s5, s37, s5
	s_mul_hi_u32 s38, s37, s0
	s_add_u32 s5, s5, s39
	s_addc_u32 s38, 0, s38
	s_add_u32 s5, s5, s36
	s_mul_hi_u32 s1, s35, s0
	s_addc_u32 s5, s38, s34
	s_addc_u32 s1, s1, 0
	s_mul_i32 s0, s35, s0
	s_add_u32 s0, s5, s0
	s_addc_u32 s5, 0, s1
	s_add_u32 s34, s37, s0
	s_cselect_b64 s[0:1], -1, 0
	v_ashrrev_i32_e32 v3, 31, v5
	s_cmp_lg_u64 s[0:1], 0
	v_add_co_u32_e32 v6, vcc, v4, v3
	s_addc_u32 s5, s35, s5
	v_xor_b32_e32 v9, v6, v3
	v_addc_co_u32_e32 v7, vcc, v5, v3, vcc
	v_mad_u64_u32 v[5:6], s[0:1], v9, s5, 0
	v_mul_hi_u32 v8, v9, s34
	v_xor_b32_e32 v10, v7, v3
	v_xor_b32_e32 v3, s4, v3
	v_add_co_u32_e32 v11, vcc, v8, v5
	v_addc_co_u32_e32 v13, vcc, 0, v6, vcc
	v_mad_u64_u32 v[5:6], s[0:1], v10, s34, 0
	v_mad_u64_u32 v[7:8], s[0:1], v10, s5, 0
	v_add_co_u32_e32 v5, vcc, v11, v5
	v_addc_co_u32_e32 v5, vcc, v13, v6, vcc
	v_addc_co_u32_e32 v6, vcc, 0, v8, vcc
	v_add_co_u32_e32 v7, vcc, v5, v7
	v_addc_co_u32_e32 v8, vcc, 0, v6, vcc
	v_mul_lo_u32 v11, s7, v7
	v_mul_lo_u32 v13, s6, v8
	v_mad_u64_u32 v[5:6], s[0:1], s6, v7, 0
	v_add3_u32 v6, v6, v13, v11
	v_sub_u32_e32 v11, v10, v6
	v_mov_b32_e32 v13, s7
	v_sub_co_u32_e32 v5, vcc, v9, v5
	v_subb_co_u32_e64 v9, s[0:1], v11, v13, vcc
	v_subrev_co_u32_e64 v11, s[0:1], s6, v5
	v_subbrev_co_u32_e64 v9, s[0:1], 0, v9, s[0:1]
	v_cmp_le_u32_e64 s[0:1], s7, v9
	v_cndmask_b32_e64 v13, 0, -1, s[0:1]
	v_cmp_le_u32_e64 s[0:1], s6, v11
	v_cndmask_b32_e64 v11, 0, -1, s[0:1]
	v_cmp_eq_u32_e64 s[0:1], s7, v9
	v_cndmask_b32_e64 v9, v13, v11, s[0:1]
	v_add_co_u32_e64 v11, s[0:1], 2, v7
	v_subb_co_u32_e32 v6, vcc, v10, v6, vcc
	v_addc_co_u32_e64 v13, s[0:1], 0, v8, s[0:1]
	v_cmp_le_u32_e32 vcc, s7, v6
	v_add_co_u32_e64 v14, s[0:1], 1, v7
	v_cndmask_b32_e64 v10, 0, -1, vcc
	v_cmp_le_u32_e32 vcc, s6, v5
	v_addc_co_u32_e64 v15, s[0:1], 0, v8, s[0:1]
	v_cndmask_b32_e64 v5, 0, -1, vcc
	v_cmp_eq_u32_e32 vcc, s7, v6
	v_cmp_ne_u32_e64 s[0:1], 0, v9
	v_cndmask_b32_e32 v5, v10, v5, vcc
	v_cmp_ne_u32_e32 vcc, 0, v5
	v_cndmask_b32_e64 v6, v14, v11, s[0:1]
	v_cndmask_b32_e64 v9, v15, v13, s[0:1]
	v_cndmask_b32_e32 v6, v7, v6, vcc
	v_cndmask_b32_e32 v5, v8, v9, vcc
	v_xor_b32_e32 v6, v6, v3
	v_xor_b32_e32 v5, v5, v3
	v_sub_co_u32_e32 v6, vcc, v6, v3
	v_subb_co_u32_e32 v7, vcc, v5, v3, vcc
.LBB1_10:                               ;   in Loop: Header=BB1_4 Depth=1
	s_andn2_saveexec_b64 s[0:1], s[2:3]
	s_cbranch_execz .LBB1_12
; %bb.11:                               ;   in Loop: Header=BB1_4 Depth=1
	v_cvt_f32_u32_e32 v3, s9
	s_sub_i32 s2, 0, s9
	v_rcp_iflag_f32_e32 v3, v3
	v_mul_f32_e32 v3, 0x4f7ffffe, v3
	v_cvt_u32_f32_e32 v3, v3
	v_mul_lo_u32 v5, s2, v3
	v_mul_hi_u32 v5, v3, v5
	v_add_u32_e32 v3, v3, v5
	v_mul_hi_u32 v3, v4, v3
	v_mul_lo_u32 v5, v3, s9
	v_add_u32_e32 v6, 1, v3
	v_sub_u32_e32 v5, v4, v5
	v_subrev_u32_e32 v7, s9, v5
	v_cmp_le_u32_e32 vcc, s9, v5
	v_cndmask_b32_e32 v5, v5, v7, vcc
	v_cndmask_b32_e32 v3, v3, v6, vcc
	v_add_u32_e32 v6, 1, v3
	v_cmp_le_u32_e32 vcc, s9, v5
	v_cndmask_b32_e32 v6, v3, v6, vcc
	v_mov_b32_e32 v7, v2
.LBB1_12:                               ;   in Loop: Header=BB1_4 Depth=1
	s_or_b64 exec, exec, s[0:1]
	v_or_b32_e32 v3, s58, v7
	v_cmp_ne_u64_e32 vcc, 0, v[2:3]
                                        ; implicit-def: $vgpr8_vgpr9
	s_and_saveexec_b64 s[0:1], vcc
	s_xor_b64 s[2:3], exec, s[0:1]
	s_cbranch_execz .LBB1_14
; %bb.13:                               ;   in Loop: Header=BB1_4 Depth=1
	s_ashr_i32 s0, s58, 31
	s_add_u32 s4, s8, s0
	s_mov_b32 s1, s0
	s_addc_u32 s5, s58, s0
	s_xor_b64 s[4:5], s[4:5], s[0:1]
	v_cvt_f32_u32_e32 v3, s4
	v_cvt_f32_u32_e32 v5, s5
	s_sub_u32 s6, 0, s4
	s_subb_u32 s7, 0, s5
	v_mac_f32_e32 v3, 0x4f800000, v5
	v_rcp_f32_e32 v3, v3
	v_mul_f32_e32 v3, 0x5f7ffffc, v3
	v_mul_f32_e32 v5, 0x2f800000, v3
	v_trunc_f32_e32 v5, v5
	v_mac_f32_e32 v3, 0xcf800000, v5
	v_cvt_u32_f32_e32 v5, v5
	v_cvt_u32_f32_e32 v3, v3
	v_readfirstlane_b32 s34, v5
	v_readfirstlane_b32 s0, v3
	s_mul_i32 s1, s6, s34
	s_mul_hi_u32 s36, s6, s0
	s_mul_i32 s35, s7, s0
	s_add_i32 s1, s36, s1
	s_add_i32 s1, s1, s35
	s_mul_i32 s37, s6, s0
	s_mul_i32 s36, s0, s1
	s_mul_hi_u32 s38, s0, s37
	s_mul_hi_u32 s35, s0, s1
	s_add_u32 s36, s38, s36
	s_addc_u32 s35, 0, s35
	s_mul_hi_u32 s39, s34, s37
	s_mul_i32 s37, s34, s37
	s_add_u32 s36, s36, s37
	s_mul_hi_u32 s38, s34, s1
	s_addc_u32 s35, s35, s39
	s_addc_u32 s36, s38, 0
	s_mul_i32 s1, s34, s1
	s_add_u32 s1, s35, s1
	s_addc_u32 s35, 0, s36
	s_add_u32 s36, s0, s1
	s_cselect_b64 s[0:1], -1, 0
	s_cmp_lg_u64 s[0:1], 0
	s_addc_u32 s34, s34, s35
	s_mul_i32 s0, s6, s34
	s_mul_hi_u32 s1, s6, s36
	s_add_i32 s0, s1, s0
	s_mul_i32 s7, s7, s36
	s_add_i32 s0, s0, s7
	s_mul_i32 s6, s6, s36
	s_mul_hi_u32 s7, s34, s6
	s_mul_i32 s35, s34, s6
	s_mul_i32 s38, s36, s0
	s_mul_hi_u32 s6, s36, s6
	s_mul_hi_u32 s37, s36, s0
	s_add_u32 s6, s6, s38
	s_addc_u32 s37, 0, s37
	s_add_u32 s6, s6, s35
	s_mul_hi_u32 s1, s34, s0
	s_addc_u32 s6, s37, s7
	s_addc_u32 s1, s1, 0
	s_mul_i32 s0, s34, s0
	s_add_u32 s0, s6, s0
	s_addc_u32 s6, 0, s1
	s_add_u32 s7, s36, s0
	s_cselect_b64 s[0:1], -1, 0
	v_ashrrev_i32_e32 v3, 31, v7
	s_cmp_lg_u64 s[0:1], 0
	v_add_co_u32_e32 v5, vcc, v6, v3
	s_addc_u32 s6, s34, s6
	v_xor_b32_e32 v5, v5, v3
	v_addc_co_u32_e32 v9, vcc, v7, v3, vcc
	v_mad_u64_u32 v[7:8], s[0:1], v5, s6, 0
	v_mul_hi_u32 v10, v5, s7
	v_xor_b32_e32 v11, v9, v3
	v_add_co_u32_e32 v13, vcc, v10, v7
	v_addc_co_u32_e32 v14, vcc, 0, v8, vcc
	v_mad_u64_u32 v[7:8], s[0:1], v11, s7, 0
	v_mad_u64_u32 v[9:10], s[0:1], v11, s6, 0
	v_add_co_u32_e32 v7, vcc, v13, v7
	v_addc_co_u32_e32 v7, vcc, v14, v8, vcc
	v_addc_co_u32_e32 v8, vcc, 0, v10, vcc
	v_add_co_u32_e32 v7, vcc, v7, v9
	v_addc_co_u32_e32 v8, vcc, 0, v8, vcc
	v_mul_lo_u32 v9, s5, v7
	v_mul_lo_u32 v10, s4, v8
	v_mad_u64_u32 v[7:8], s[0:1], s4, v7, 0
	v_add3_u32 v8, v8, v10, v9
	v_sub_u32_e32 v9, v11, v8
	v_mov_b32_e32 v10, s5
	v_sub_co_u32_e32 v5, vcc, v5, v7
	v_subb_co_u32_e64 v7, s[0:1], v9, v10, vcc
	v_subrev_co_u32_e64 v9, s[0:1], s4, v5
	v_subbrev_co_u32_e64 v7, s[0:1], 0, v7, s[0:1]
	v_cmp_le_u32_e64 s[0:1], s5, v7
	v_subb_co_u32_e32 v8, vcc, v11, v8, vcc
	v_cndmask_b32_e64 v10, 0, -1, s[0:1]
	v_cmp_le_u32_e64 s[0:1], s4, v9
	v_cmp_le_u32_e32 vcc, s5, v8
	v_cndmask_b32_e64 v13, 0, -1, s[0:1]
	v_cmp_eq_u32_e64 s[0:1], s5, v7
	v_cndmask_b32_e64 v11, 0, -1, vcc
	v_cmp_le_u32_e32 vcc, s4, v5
	v_cndmask_b32_e64 v7, v10, v13, s[0:1]
	v_cndmask_b32_e64 v13, 0, -1, vcc
	v_cmp_eq_u32_e32 vcc, s5, v8
	v_subrev_co_u32_e64 v10, s[0:1], s4, v9
	v_cndmask_b32_e32 v8, v11, v13, vcc
	v_cmp_ne_u32_e32 vcc, 0, v7
	v_cndmask_b32_e32 v7, v9, v10, vcc
	v_cmp_ne_u32_e32 vcc, 0, v8
	v_cndmask_b32_e32 v5, v5, v7, vcc
	v_xor_b32_e32 v5, v5, v3
	v_sub_co_u32_e32 v8, vcc, v5, v3
.LBB1_14:                               ;   in Loop: Header=BB1_4 Depth=1
	s_andn2_saveexec_b64 s[0:1], s[2:3]
	s_cbranch_execz .LBB1_16
; %bb.15:                               ;   in Loop: Header=BB1_4 Depth=1
	v_cvt_f32_u32_e32 v3, s8
	s_sub_i32 s2, 0, s8
	v_rcp_iflag_f32_e32 v3, v3
	v_mul_f32_e32 v3, 0x4f7ffffe, v3
	v_cvt_u32_f32_e32 v3, v3
	v_mul_lo_u32 v5, s2, v3
	v_mul_hi_u32 v5, v3, v5
	v_add_u32_e32 v3, v3, v5
	v_mul_hi_u32 v3, v6, v3
	v_mul_lo_u32 v3, v3, s8
	v_sub_u32_e32 v3, v6, v3
	v_subrev_u32_e32 v5, s8, v3
	v_cmp_le_u32_e32 vcc, s8, v3
	v_cndmask_b32_e32 v3, v3, v5, vcc
	v_subrev_u32_e32 v5, s8, v3
	v_cmp_le_u32_e32 vcc, s8, v3
	v_cndmask_b32_e32 v8, v3, v5, vcc
.LBB1_16:                               ;   in Loop: Header=BB1_4 Depth=1
	s_or_b64 exec, exec, s[0:1]
	v_or_b32_e32 v3, s60, v1
	v_cmp_ne_u64_e32 vcc, 0, v[2:3]
                                        ; implicit-def: $vgpr10_vgpr11
	s_and_saveexec_b64 s[0:1], vcc
	s_xor_b64 s[2:3], exec, s[0:1]
	s_cbranch_execz .LBB1_18
; %bb.17:                               ;   in Loop: Header=BB1_4 Depth=1
	s_ashr_i32 s4, s60, 31
	s_add_u32 s0, s59, s4
	s_mov_b32 s5, s4
	s_addc_u32 s1, s60, s4
	s_xor_b64 s[6:7], s[0:1], s[4:5]
	v_cvt_f32_u32_e32 v3, s6
	v_cvt_f32_u32_e32 v5, s7
	s_sub_u32 s5, 0, s6
	s_subb_u32 s34, 0, s7
	v_mac_f32_e32 v3, 0x4f800000, v5
	v_rcp_f32_e32 v3, v3
	v_mul_f32_e32 v3, 0x5f7ffffc, v3
	v_mul_f32_e32 v5, 0x2f800000, v3
	v_trunc_f32_e32 v5, v5
	v_mac_f32_e32 v3, 0xcf800000, v5
	v_cvt_u32_f32_e32 v5, v5
	v_cvt_u32_f32_e32 v3, v3
	v_readfirstlane_b32 s35, v5
	v_readfirstlane_b32 s0, v3
	s_mul_i32 s1, s5, s35
	s_mul_hi_u32 s37, s5, s0
	s_mul_i32 s36, s34, s0
	s_add_i32 s1, s37, s1
	s_add_i32 s1, s1, s36
	s_mul_i32 s38, s5, s0
	s_mul_i32 s37, s0, s1
	s_mul_hi_u32 s39, s0, s38
	s_mul_hi_u32 s36, s0, s1
	s_add_u32 s37, s39, s37
	s_addc_u32 s36, 0, s36
	s_mul_hi_u32 s40, s35, s38
	s_mul_i32 s38, s35, s38
	s_add_u32 s37, s37, s38
	s_mul_hi_u32 s39, s35, s1
	s_addc_u32 s36, s36, s40
	s_addc_u32 s37, s39, 0
	s_mul_i32 s1, s35, s1
	s_add_u32 s1, s36, s1
	s_addc_u32 s36, 0, s37
	s_add_u32 s37, s0, s1
	s_cselect_b64 s[0:1], -1, 0
	s_cmp_lg_u64 s[0:1], 0
	s_addc_u32 s35, s35, s36
	s_mul_i32 s0, s5, s35
	s_mul_hi_u32 s1, s5, s37
	s_add_i32 s0, s1, s0
	s_mul_i32 s34, s34, s37
	s_add_i32 s0, s0, s34
	s_mul_i32 s5, s5, s37
	s_mul_hi_u32 s34, s35, s5
	s_mul_i32 s36, s35, s5
	s_mul_i32 s39, s37, s0
	s_mul_hi_u32 s5, s37, s5
	s_mul_hi_u32 s38, s37, s0
	s_add_u32 s5, s5, s39
	s_addc_u32 s38, 0, s38
	s_add_u32 s5, s5, s36
	s_mul_hi_u32 s1, s35, s0
	s_addc_u32 s5, s38, s34
	s_addc_u32 s1, s1, 0
	s_mul_i32 s0, s35, s0
	s_add_u32 s0, s5, s0
	s_addc_u32 s5, 0, s1
	s_add_u32 s34, s37, s0
	s_cselect_b64 s[0:1], -1, 0
	s_cmp_lg_u64 s[0:1], 0
	v_add_co_u32_e32 v3, vcc, v0, v12
	s_addc_u32 s5, s35, s5
	v_xor_b32_e32 v3, v3, v12
	v_mad_u64_u32 v[9:10], s[0:1], v3, s5, 0
	v_mul_hi_u32 v7, v3, s34
	v_addc_co_u32_e32 v5, vcc, v1, v12, vcc
	v_xor_b32_e32 v5, v5, v12
	v_add_co_u32_e32 v7, vcc, v7, v9
	v_addc_co_u32_e32 v11, vcc, 0, v10, vcc
	v_mad_u64_u32 v[9:10], s[0:1], v5, s34, 0
	v_mad_u64_u32 v[13:14], s[0:1], v5, s5, 0
	v_add_co_u32_e32 v7, vcc, v7, v9
	v_addc_co_u32_e32 v7, vcc, v11, v10, vcc
	v_addc_co_u32_e32 v9, vcc, 0, v14, vcc
	v_add_co_u32_e32 v7, vcc, v7, v13
	v_addc_co_u32_e32 v9, vcc, 0, v9, vcc
	v_mul_lo_u32 v11, s7, v7
	v_mul_lo_u32 v13, s6, v9
	v_mad_u64_u32 v[9:10], s[0:1], s6, v7, 0
	v_add3_u32 v10, v10, v13, v11
	v_sub_u32_e32 v11, v5, v10
	v_mov_b32_e32 v13, s7
	v_sub_co_u32_e32 v3, vcc, v3, v9
	v_subb_co_u32_e64 v9, s[0:1], v11, v13, vcc
	v_subrev_co_u32_e64 v11, s[0:1], s6, v3
	v_subbrev_co_u32_e64 v9, s[0:1], 0, v9, s[0:1]
	v_cmp_le_u32_e64 s[0:1], s7, v9
	v_subb_co_u32_e32 v5, vcc, v5, v10, vcc
	v_cndmask_b32_e64 v13, 0, -1, s[0:1]
	v_cmp_le_u32_e64 s[0:1], s6, v11
	v_cmp_le_u32_e32 vcc, s7, v5
	v_cndmask_b32_e64 v11, 0, -1, s[0:1]
	v_cmp_eq_u32_e64 s[0:1], s7, v9
	v_cndmask_b32_e64 v10, 0, -1, vcc
	v_cmp_le_u32_e32 vcc, s6, v3
	v_cndmask_b32_e64 v9, v13, v11, s[0:1]
	v_cndmask_b32_e64 v3, 0, -1, vcc
	v_cmp_eq_u32_e32 vcc, s7, v5
	v_add_co_u32_e64 v11, s[0:1], 2, v7
	v_add_co_u32_e64 v13, s[0:1], 1, v7
	v_cndmask_b32_e32 v3, v10, v3, vcc
	v_cmp_ne_u32_e32 vcc, 0, v9
	v_cndmask_b32_e32 v5, v13, v11, vcc
	v_cmp_ne_u32_e32 vcc, 0, v3
	v_cndmask_b32_e32 v3, v7, v5, vcc
	v_xor_b32_e32 v5, s4, v12
	v_xor_b32_e32 v3, v3, v5
	v_sub_co_u32_e32 v10, vcc, v3, v5
.LBB1_18:                               ;   in Loop: Header=BB1_4 Depth=1
	s_andn2_saveexec_b64 s[0:1], s[2:3]
	s_cbranch_execz .LBB1_20
; %bb.19:                               ;   in Loop: Header=BB1_4 Depth=1
	v_cvt_f32_u32_e32 v3, s59
	s_sub_i32 s2, 0, s59
	v_rcp_iflag_f32_e32 v3, v3
	v_mul_f32_e32 v3, 0x4f7ffffe, v3
	v_cvt_u32_f32_e32 v3, v3
	v_mul_lo_u32 v5, s2, v3
	v_mul_hi_u32 v5, v3, v5
	v_add_u32_e32 v3, v3, v5
	v_mul_hi_u32 v3, v0, v3
	v_mul_lo_u32 v5, v3, s59
	v_add_u32_e32 v7, 1, v3
	v_sub_u32_e32 v5, v0, v5
	v_subrev_u32_e32 v9, s59, v5
	v_cmp_le_u32_e32 vcc, s59, v5
	v_cndmask_b32_e32 v5, v5, v9, vcc
	v_cndmask_b32_e32 v3, v3, v7, vcc
	v_add_u32_e32 v7, 1, v3
	v_cmp_le_u32_e32 vcc, s59, v5
	v_cndmask_b32_e32 v10, v3, v7, vcc
.LBB1_20:                               ;   in Loop: Header=BB1_4 Depth=1
	s_or_b64 exec, exec, s[0:1]
	v_mul_lo_u32 v3, v4, s56
	v_mov_b32_e32 v5, 0
	v_mov_b32_e32 v7, 0
	v_sub_u32_e32 v3, v0, v3
	v_add_u32_e32 v3, s16, v3
	v_cmp_lt_i32_e32 vcc, s61, v3
	s_and_saveexec_b64 s[0:1], vcc
	s_cbranch_execz .LBB1_22
; %bb.21:                               ;   in Loop: Header=BB1_4 Depth=1
	v_add_u32_e32 v7, s66, v3
	v_sub_u32_e32 v9, 0, v7
	v_max_i32_e32 v9, v7, v9
	v_mul_hi_u32 v11, v9, v21
	v_ashrrev_i32_e32 v7, 31, v7
	v_xor_b32_e32 v7, s84, v7
	v_mul_lo_u32 v12, v11, s76
	v_add_u32_e32 v13, 1, v11
	v_sub_u32_e32 v9, v9, v12
	v_cmp_le_u32_e32 vcc, s76, v9
	v_subrev_u32_e32 v12, s76, v9
	v_cndmask_b32_e32 v11, v11, v13, vcc
	v_cndmask_b32_e32 v9, v9, v12, vcc
	v_add_u32_e32 v12, 1, v11
	v_cmp_le_u32_e32 vcc, s76, v9
	v_cndmask_b32_e32 v9, v11, v12, vcc
	v_xor_b32_e32 v9, v9, v7
	v_sub_u32_e32 v7, v9, v7
	v_add_u32_e32 v7, 1, v7
.LBB1_22:                               ;   in Loop: Header=BB1_4 Depth=1
	s_or_b64 exec, exec, s[0:1]
	v_mul_lo_u32 v6, v6, s9
	v_sub_u32_e32 v6, v4, v6
	v_add_u32_e32 v24, s15, v6
	v_cmp_lt_i32_e32 vcc, s62, v24
	s_and_saveexec_b64 s[0:1], vcc
	s_cbranch_execz .LBB1_24
; %bb.23:                               ;   in Loop: Header=BB1_4 Depth=1
	v_add_u32_e32 v5, s63, v24
	v_sub_u32_e32 v6, 0, v5
	v_max_i32_e32 v6, v5, v6
	v_mul_hi_u32 v9, v6, v22
	v_ashrrev_i32_e32 v5, 31, v5
	v_xor_b32_e32 v5, s85, v5
	v_mul_lo_u32 v11, v9, s81
	v_add_u32_e32 v12, 1, v9
	v_sub_u32_e32 v6, v6, v11
	v_cmp_le_u32_e32 vcc, s81, v6
	v_subrev_u32_e32 v11, s81, v6
	v_cndmask_b32_e32 v9, v9, v12, vcc
	v_cndmask_b32_e32 v6, v6, v11, vcc
	v_add_u32_e32 v11, 1, v9
	v_cmp_le_u32_e32 vcc, s81, v6
	v_cndmask_b32_e32 v6, v9, v11, vcc
	v_xor_b32_e32 v6, v6, v5
	v_sub_u32_e32 v5, v6, v5
	v_add_u32_e32 v5, 1, v5
.LBB1_24:                               ;   in Loop: Header=BB1_4 Depth=1
	s_or_b64 exec, exec, s[0:1]
	v_add_u32_e32 v25, s14, v8
	v_cmp_lt_i32_e32 vcc, s64, v25
	v_mov_b32_e32 v8, 0
	v_mov_b32_e32 v9, 0
	s_and_saveexec_b64 s[0:1], vcc
	s_cbranch_execz .LBB1_26
; %bb.25:                               ;   in Loop: Header=BB1_4 Depth=1
	v_add_u32_e32 v6, s65, v25
	v_sub_u32_e32 v9, 0, v6
	v_max_i32_e32 v9, v6, v9
	v_mul_hi_u32 v11, v9, v23
	v_ashrrev_i32_e32 v6, 31, v6
	v_xor_b32_e32 v6, s86, v6
	v_mul_lo_u32 v12, v11, s82
	v_add_u32_e32 v13, 1, v11
	v_sub_u32_e32 v9, v9, v12
	v_cmp_le_u32_e32 vcc, s82, v9
	v_subrev_u32_e32 v12, s82, v9
	v_cndmask_b32_e32 v11, v11, v13, vcc
	v_cndmask_b32_e32 v9, v9, v12, vcc
	v_add_u32_e32 v12, 1, v11
	v_cmp_le_u32_e32 vcc, s82, v9
	v_cndmask_b32_e32 v9, v11, v12, vcc
	v_xor_b32_e32 v9, v9, v6
	v_sub_u32_e32 v6, v9, v6
	v_add_u32_e32 v9, 1, v6
.LBB1_26:                               ;   in Loop: Header=BB1_4 Depth=1
	s_or_b64 exec, exec, s[0:1]
	v_sub_u32_e32 v6, 0, v25
	v_max_i32_e32 v6, v25, v6
	v_mul_hi_u32 v11, v6, v23
	v_ashrrev_i32_e32 v13, 31, v25
	v_xor_b32_e32 v13, s86, v13
	v_mul_lo_u32 v12, v11, s82
	v_add_u32_e32 v14, 1, v11
	v_sub_u32_e32 v6, v6, v12
	v_cmp_le_u32_e32 vcc, s82, v6
	v_subrev_u32_e32 v12, s82, v6
	v_cndmask_b32_e32 v11, v11, v14, vcc
	v_cndmask_b32_e32 v6, v6, v12, vcc
	v_add_u32_e32 v12, 1, v11
	v_cmp_le_u32_e32 vcc, s82, v6
	v_cndmask_b32_e32 v6, v11, v12, vcc
	v_xor_b32_e32 v6, v6, v13
	v_sub_u32_e32 v6, v6, v13
	v_add_u32_e32 v6, 1, v6
	v_min_i32_e32 v26, s23, v6
	v_cmp_lt_i32_e32 vcc, v9, v26
	s_and_saveexec_b64 s[34:35], vcc
	s_cbranch_execz .LBB1_3
; %bb.27:                               ;   in Loop: Header=BB1_4 Depth=1
	v_sub_u32_e32 v6, 0, v24
	v_max_i32_e32 v6, v24, v6
	v_mul_hi_u32 v13, v6, v22
	v_ashrrev_i32_e32 v8, 31, v7
	v_lshlrev_b64 v[11:12], 2, v[7:8]
	v_mov_b32_e32 v14, s27
	v_mul_lo_u32 v8, v13, s81
	v_add_co_u32_e32 v11, vcc, s26, v11
	v_addc_co_u32_e32 v12, vcc, v14, v12, vcc
	v_sub_u32_e32 v14, 0, v3
	v_sub_u32_e32 v6, v6, v8
	v_max_i32_e32 v14, v3, v14
	v_add_u32_e32 v8, 1, v13
	v_cmp_le_u32_e32 vcc, s81, v6
	v_mul_hi_u32 v15, v14, v21
	v_cndmask_b32_e32 v8, v13, v8, vcc
	v_subrev_u32_e32 v13, s81, v6
	v_cndmask_b32_e32 v6, v6, v13, vcc
	v_add_u32_e32 v13, 1, v8
	v_cmp_le_u32_e32 vcc, s81, v6
	v_cndmask_b32_e32 v6, v8, v13, vcc
	v_mul_lo_u32 v13, v15, s76
	v_ashrrev_i32_e32 v8, 31, v24
	v_xor_b32_e32 v8, s85, v8
	v_xor_b32_e32 v6, v6, v8
	v_sub_u32_e32 v6, v6, v8
	v_sub_u32_e32 v8, v14, v13
	v_add_u32_e32 v13, 1, v15
	v_cmp_le_u32_e32 vcc, s76, v8
	v_subrev_u32_e32 v14, s76, v8
	v_cndmask_b32_e32 v13, v15, v13, vcc
	v_cndmask_b32_e32 v8, v8, v14, vcc
	v_add_u32_e32 v14, 1, v13
	v_cmp_le_u32_e32 vcc, s76, v8
	v_ashrrev_i32_e32 v3, 31, v3
	v_cndmask_b32_e32 v8, v13, v14, vcc
	v_add_u32_e32 v6, 1, v6
	v_xor_b32_e32 v3, s84, v3
	v_min_i32_e32 v27, s28, v6
	v_xor_b32_e32 v6, v8, v3
	v_sub_u32_e32 v3, v6, v3
	v_add_u32_e32 v3, 1, v3
	v_min_i32_e32 v29, s29, v3
	v_mul_lo_u32 v3, s19, v7
	v_mul_lo_u32 v28, s11, v10
	;; [unrolled: 1-line block ×3, first 2 shown]
	v_add_u32_e32 v8, s16, v0
	v_sub_u32_e32 v3, v8, v3
	v_cmp_lt_i32_e64 s[0:1], v5, v27
	v_cmp_lt_i32_e64 s[2:3], v7, v29
	v_ashrrev_i32_e32 v30, 31, v28
	v_ashrrev_i32_e32 v6, 31, v5
	;; [unrolled: 1-line block ×3, first 2 shown]
	v_sub_u32_e32 v31, v3, v4
	v_mov_b32_e32 v8, 0
	s_mov_b64 s[36:37], 0
	s_branch .LBB1_30
.LBB1_28:                               ;   in Loop: Header=BB1_30 Depth=2
	s_or_b64 exec, exec, s[40:41]
.LBB1_29:                               ;   in Loop: Header=BB1_30 Depth=2
	s_or_b64 exec, exec, s[38:39]
	v_add_co_u32_e32 v9, vcc, 1, v9
	v_addc_co_u32_e32 v10, vcc, 0, v10, vcc
	v_cmp_ge_i32_e32 vcc, v9, v26
	s_or_b64 s[36:37], vcc, s[36:37]
	s_andn2_b64 exec, exec, s[36:37]
	s_cbranch_execz .LBB1_2
.LBB1_30:                               ;   Parent Loop BB1_4 Depth=1
                                        ; =>  This Loop Header: Depth=2
                                        ;       Child Loop BB1_34 Depth 3
                                        ;         Child Loop BB1_43 Depth 4
	s_and_saveexec_b64 s[38:39], s[0:1]
	s_cbranch_execz .LBB1_29
; %bb.31:                               ;   in Loop: Header=BB1_30 Depth=2
	v_mul_lo_u32 v3, v9, s17
	v_mov_b32_e32 v14, v6
	s_mov_b64 s[40:41], 0
	v_mov_b32_e32 v13, v5
	v_sub_u32_e32 v32, v25, v3
	v_ashrrev_i32_e32 v33, 31, v32
	s_branch .LBB1_34
.LBB1_32:                               ;   in Loop: Header=BB1_34 Depth=3
	s_or_b64 exec, exec, s[44:45]
.LBB1_33:                               ;   in Loop: Header=BB1_34 Depth=3
	s_or_b64 exec, exec, s[42:43]
	v_add_co_u32_e32 v13, vcc, 1, v13
	v_addc_co_u32_e32 v14, vcc, 0, v14, vcc
	v_cmp_ge_i32_e32 vcc, v13, v27
	s_or_b64 s[40:41], vcc, s[40:41]
	s_andn2_b64 exec, exec, s[40:41]
	s_cbranch_execz .LBB1_28
.LBB1_34:                               ;   Parent Loop BB1_4 Depth=1
                                        ;     Parent Loop BB1_30 Depth=2
                                        ; =>    This Loop Header: Depth=3
                                        ;         Child Loop BB1_43 Depth 4
	s_and_saveexec_b64 s[42:43], s[2:3]
	s_cbranch_execz .LBB1_33
; %bb.35:                               ;   in Loop: Header=BB1_34 Depth=3
	v_or_b32_e32 v3, s67, v33
	v_cmp_ne_u64_e32 vcc, 0, v[2:3]
                                        ; implicit-def: $vgpr3_vgpr4
	s_and_saveexec_b64 s[4:5], vcc
	s_xor_b64 s[4:5], exec, s[4:5]
	s_cbranch_execz .LBB1_37
; %bb.36:                               ;   in Loop: Header=BB1_34 Depth=3
	s_ashr_i32 s6, s68, 31
	s_add_i32 s7, s68, s6
	s_xor_b32 s7, s7, s6
	v_cvt_f32_u32_e32 v3, s7
	s_sub_i32 s44, 0, s7
	v_ashrrev_i32_e32 v15, 31, v32
	v_add_u32_e32 v16, v32, v15
	v_rcp_iflag_f32_e32 v3, v3
	v_xor_b32_e32 v16, v16, v15
	v_mul_f32_e32 v3, 0x4f7ffffe, v3
	v_cvt_u32_f32_e32 v3, v3
	v_mul_lo_u32 v4, s44, v3
	v_mul_hi_u32 v4, v3, v4
	v_add_u32_e32 v3, v3, v4
	v_mul_hi_u32 v3, v16, v3
	v_mul_lo_u32 v4, v3, s7
	v_add_u32_e32 v17, 1, v3
	v_sub_u32_e32 v4, v16, v4
	v_subrev_u32_e32 v16, s7, v4
	v_cmp_le_u32_e32 vcc, s7, v4
	v_cndmask_b32_e32 v4, v4, v16, vcc
	v_cndmask_b32_e32 v3, v3, v17, vcc
	v_add_u32_e32 v16, 1, v3
	v_cmp_le_u32_e32 vcc, s7, v4
	v_cndmask_b32_e32 v3, v3, v16, vcc
	v_xor_b32_e32 v4, s6, v15
	v_xor_b32_e32 v3, v3, v4
	v_sub_u32_e32 v3, v3, v4
	v_ashrrev_i32_e32 v4, 31, v3
.LBB1_37:                               ;   in Loop: Header=BB1_34 Depth=3
	s_andn2_saveexec_b64 s[4:5], s[4:5]
	s_cbranch_execz .LBB1_39
; %bb.38:                               ;   in Loop: Header=BB1_34 Depth=3
	v_cvt_f32_u32_e32 v3, s68
	s_sub_i32 s6, 0, s68
	v_rcp_iflag_f32_e32 v3, v3
	v_mul_f32_e32 v3, 0x4f7ffffe, v3
	v_cvt_u32_f32_e32 v3, v3
	v_mul_lo_u32 v4, s6, v3
	v_mul_hi_u32 v4, v3, v4
	v_add_u32_e32 v3, v3, v4
	v_mul_hi_u32 v3, v32, v3
	v_mul_lo_u32 v4, v3, s68
	v_add_u32_e32 v15, 1, v3
	v_sub_u32_e32 v4, v32, v4
	v_subrev_u32_e32 v16, s68, v4
	v_cmp_le_u32_e32 vcc, s68, v4
	v_cndmask_b32_e32 v4, v4, v16, vcc
	v_cndmask_b32_e32 v3, v3, v15, vcc
	v_add_u32_e32 v15, 1, v3
	v_cmp_le_u32_e32 vcc, s68, v4
	v_cndmask_b32_e32 v3, v3, v15, vcc
	v_mov_b32_e32 v4, v2
.LBB1_39:                               ;   in Loop: Header=BB1_34 Depth=3
	s_or_b64 exec, exec, s[4:5]
	v_mul_lo_u32 v15, v13, s18
	v_mul_lo_u32 v16, v4, s68
	;; [unrolled: 1-line block ×3, first 2 shown]
	v_mad_u64_u32 v[17:18], s[4:5], v3, s68, 0
	v_add_co_u32_e32 v3, vcc, v3, v28
	v_addc_co_u32_e32 v4, vcc, v4, v30, vcc
	v_sub_u32_e32 v34, v24, v15
	v_add3_u32 v18, v18, v19, v16
	v_mul_lo_u32 v19, v4, s73
	v_mul_lo_u32 v20, v3, s72
	v_mad_u64_u32 v[15:16], s[4:5], v3, s73, 0
	v_sub_co_u32_e32 v3, vcc, v32, v17
	v_subb_co_u32_e32 v4, vcc, v33, v18, vcc
	v_cmp_eq_u64_e64 s[4:5], 0, v[3:4]
	v_mov_b32_e32 v18, v12
	v_ashrrev_i32_e32 v35, 31, v34
	s_mov_b64 s[44:45], 0
	v_add3_u32 v16, v16, v20, v19
	v_mov_b32_e32 v36, v31
	v_mov_b32_e32 v17, v11
	;; [unrolled: 1-line block ×3, first 2 shown]
	s_branch .LBB1_43
.LBB1_40:                               ;   in Loop: Header=BB1_43 Depth=4
	s_or_b64 exec, exec, s[6:7]
.LBB1_41:                               ;   in Loop: Header=BB1_43 Depth=4
	s_or_b64 exec, exec, s[48:49]
.LBB1_42:                               ;   in Loop: Header=BB1_43 Depth=4
	s_or_b64 exec, exec, s[46:47]
	v_add_co_u32_e32 v17, vcc, 4, v17
	v_add_u32_e32 v37, 1, v37
	v_addc_co_u32_e32 v18, vcc, 0, v18, vcc
	v_cmp_ge_i32_e32 vcc, v37, v29
	s_or_b64 s[44:45], vcc, s[44:45]
	v_subrev_u32_e32 v36, s19, v36
	s_andn2_b64 exec, exec, s[44:45]
	s_cbranch_execz .LBB1_32
.LBB1_43:                               ;   Parent Loop BB1_4 Depth=1
                                        ;     Parent Loop BB1_30 Depth=2
                                        ;       Parent Loop BB1_34 Depth=3
                                        ; =>      This Inner Loop Header: Depth=4
	v_ashrrev_i32_e32 v38, 31, v36
	s_and_saveexec_b64 s[46:47], s[4:5]
	s_cbranch_execz .LBB1_42
; %bb.44:                               ;   in Loop: Header=BB1_43 Depth=4
	v_or_b32_e32 v3, s69, v35
	v_cmp_ne_u64_e32 vcc, 0, v[2:3]
                                        ; implicit-def: $vgpr19_vgpr20
	s_and_saveexec_b64 s[6:7], vcc
	s_xor_b64 s[48:49], exec, s[6:7]
	s_cbranch_execz .LBB1_46
; %bb.45:                               ;   in Loop: Header=BB1_43 Depth=4
	s_ashr_i32 s50, s70, 31
	s_add_i32 s6, s70, s50
	s_xor_b32 s6, s6, s50
	v_cvt_f32_u32_e32 v3, s6
	s_sub_i32 s7, 0, s6
	v_rcp_iflag_f32_e32 v3, v3
	v_mul_f32_e32 v3, 0x4f7ffffe, v3
	v_cvt_u32_f32_e32 v3, v3
	v_mul_lo_u32 v4, s7, v3
	v_mul_hi_u32 v4, v3, v4
	v_add_u32_e32 v3, v3, v4
	v_ashrrev_i32_e32 v4, 31, v34
	v_add_u32_e32 v19, v34, v4
	v_xor_b32_e32 v19, v19, v4
	v_mul_hi_u32 v3, v19, v3
	v_xor_b32_e32 v4, s50, v4
	v_mul_lo_u32 v20, v3, s6
	v_sub_u32_e32 v19, v19, v20
	v_cmp_le_u32_e32 vcc, s6, v19
	v_subrev_u32_e32 v20, s6, v19
	v_cndmask_b32_e32 v19, v19, v20, vcc
	v_cmp_le_u32_e64 s[6:7], s6, v19
	v_add_u32_e32 v19, 1, v3
	v_cndmask_b32_e32 v3, v3, v19, vcc
	v_add_u32_e32 v19, 1, v3
	v_cndmask_b32_e64 v3, v3, v19, s[6:7]
	v_xor_b32_e32 v3, v3, v4
	v_sub_u32_e32 v19, v3, v4
	v_ashrrev_i32_e32 v20, 31, v19
.LBB1_46:                               ;   in Loop: Header=BB1_43 Depth=4
	s_andn2_saveexec_b64 s[6:7], s[48:49]
	s_cbranch_execz .LBB1_48
; %bb.47:                               ;   in Loop: Header=BB1_43 Depth=4
	v_cvt_f32_u32_e32 v3, s70
	s_sub_i32 s48, 0, s70
	v_rcp_iflag_f32_e32 v3, v3
	v_mul_f32_e32 v3, 0x4f7ffffe, v3
	v_cvt_u32_f32_e32 v3, v3
	v_mul_lo_u32 v4, s48, v3
	v_mul_hi_u32 v4, v3, v4
	v_add_u32_e32 v3, v3, v4
	v_mul_hi_u32 v3, v34, v3
	v_mul_lo_u32 v4, v3, s70
	v_add_u32_e32 v19, 1, v3
	v_sub_u32_e32 v4, v34, v4
	v_subrev_u32_e32 v20, s70, v4
	v_cmp_le_u32_e32 vcc, s70, v4
	v_cndmask_b32_e32 v4, v4, v20, vcc
	v_cndmask_b32_e32 v3, v3, v19, vcc
	v_add_u32_e32 v19, 1, v3
	v_cmp_le_u32_e32 vcc, s70, v4
	v_cndmask_b32_e32 v19, v3, v19, vcc
	v_mov_b32_e32 v20, v2
.LBB1_48:                               ;   in Loop: Header=BB1_43 Depth=4
	s_or_b64 exec, exec, s[6:7]
	v_mul_lo_u32 v39, v20, s70
	v_mul_lo_u32 v40, v19, s69
	v_mad_u64_u32 v[3:4], s[6:7], v19, s70, 0
	v_add3_u32 v4, v4, v40, v39
	v_sub_co_u32_e32 v3, vcc, v34, v3
	v_subb_co_u32_e32 v4, vcc, v35, v4, vcc
	v_cmp_eq_u64_e32 vcc, 0, v[3:4]
	s_and_saveexec_b64 s[48:49], vcc
	s_cbranch_execz .LBB1_41
; %bb.49:                               ;   in Loop: Header=BB1_43 Depth=4
	v_or_b32_e32 v3, s71, v38
	v_cmp_ne_u64_e32 vcc, 0, v[2:3]
                                        ; implicit-def: $vgpr3_vgpr4
	s_and_saveexec_b64 s[6:7], vcc
	s_xor_b64 s[50:51], exec, s[6:7]
	s_cbranch_execz .LBB1_51
; %bb.50:                               ;   in Loop: Header=BB1_43 Depth=4
	s_ashr_i32 s52, s71, 31
	s_add_u32 s6, s22, s52
	s_mov_b32 s53, s52
	s_addc_u32 s7, s71, s52
	s_xor_b64 s[54:55], s[6:7], s[52:53]
	v_cvt_f32_u32_e32 v3, s54
	v_cvt_f32_u32_e32 v4, s55
	s_sub_u32 s53, 0, s54
	s_subb_u32 s87, 0, s55
	v_ashrrev_i32_e32 v41, 31, v38
	v_mac_f32_e32 v3, 0x4f800000, v4
	v_rcp_f32_e32 v3, v3
	v_mul_f32_e32 v3, 0x5f7ffffc, v3
	v_mul_f32_e32 v4, 0x2f800000, v3
	v_trunc_f32_e32 v4, v4
	v_mac_f32_e32 v3, 0xcf800000, v4
	v_cvt_u32_f32_e32 v4, v4
	v_cvt_u32_f32_e32 v3, v3
	v_readfirstlane_b32 s88, v4
	v_readfirstlane_b32 s6, v3
	s_mul_i32 s7, s53, s88
	s_mul_hi_u32 s90, s53, s6
	s_mul_i32 s89, s87, s6
	s_add_i32 s7, s90, s7
	s_add_i32 s7, s7, s89
	s_mul_i32 s91, s53, s6
	s_mul_i32 s90, s6, s7
	s_mul_hi_u32 s92, s6, s91
	s_mul_hi_u32 s89, s6, s7
	s_add_u32 s90, s92, s90
	s_addc_u32 s89, 0, s89
	s_mul_hi_u32 s93, s88, s91
	s_mul_i32 s91, s88, s91
	s_add_u32 s90, s90, s91
	s_mul_hi_u32 s92, s88, s7
	s_addc_u32 s89, s89, s93
	s_addc_u32 s90, s92, 0
	s_mul_i32 s7, s88, s7
	s_add_u32 s7, s89, s7
	s_addc_u32 s89, 0, s90
	s_add_u32 s90, s6, s7
	s_cselect_b64 s[6:7], -1, 0
	s_cmp_lg_u64 s[6:7], 0
	s_addc_u32 s88, s88, s89
	s_mul_i32 s6, s53, s88
	s_mul_hi_u32 s7, s53, s90
	s_add_i32 s6, s7, s6
	s_mul_i32 s87, s87, s90
	s_add_i32 s6, s6, s87
	s_mul_i32 s53, s53, s90
	s_mul_hi_u32 s87, s88, s53
	s_mul_i32 s89, s88, s53
	s_mul_i32 s92, s90, s6
	s_mul_hi_u32 s53, s90, s53
	s_mul_hi_u32 s91, s90, s6
	s_add_u32 s53, s53, s92
	s_addc_u32 s91, 0, s91
	s_add_u32 s53, s53, s89
	s_mul_hi_u32 s7, s88, s6
	s_addc_u32 s53, s91, s87
	s_addc_u32 s7, s7, 0
	s_mul_i32 s6, s88, s6
	s_add_u32 s6, s53, s6
	s_addc_u32 s53, 0, s7
	s_add_u32 s87, s90, s6
	s_cselect_b64 s[6:7], -1, 0
	s_cmp_lg_u64 s[6:7], 0
	v_add_co_u32_e32 v3, vcc, v36, v41
	s_addc_u32 s53, s88, s53
	v_xor_b32_e32 v42, v3, v41
	v_mad_u64_u32 v[3:4], s[6:7], v42, s53, 0
	v_mul_hi_u32 v40, v42, s87
	v_addc_co_u32_e32 v39, vcc, v38, v41, vcc
	v_xor_b32_e32 v43, v39, v41
	v_add_co_u32_e32 v44, vcc, v40, v3
	v_addc_co_u32_e32 v45, vcc, 0, v4, vcc
	v_mad_u64_u32 v[3:4], s[6:7], v43, s87, 0
	v_mad_u64_u32 v[39:40], s[6:7], v43, s53, 0
	v_add_co_u32_e32 v3, vcc, v44, v3
	v_addc_co_u32_e32 v3, vcc, v45, v4, vcc
	v_addc_co_u32_e32 v4, vcc, 0, v40, vcc
	v_add_co_u32_e32 v39, vcc, v3, v39
	v_addc_co_u32_e32 v40, vcc, 0, v4, vcc
	v_mul_lo_u32 v44, s55, v39
	v_mul_lo_u32 v45, s54, v40
	v_mad_u64_u32 v[3:4], s[6:7], s54, v39, 0
	v_add3_u32 v4, v4, v45, v44
	v_sub_u32_e32 v44, v43, v4
	v_mov_b32_e32 v45, s55
	v_sub_co_u32_e32 v3, vcc, v42, v3
	v_subb_co_u32_e64 v42, s[6:7], v44, v45, vcc
	v_subrev_co_u32_e64 v44, s[6:7], s54, v3
	v_subbrev_co_u32_e64 v42, s[6:7], 0, v42, s[6:7]
	v_cmp_le_u32_e64 s[6:7], s55, v42
	v_cndmask_b32_e64 v45, 0, -1, s[6:7]
	v_cmp_le_u32_e64 s[6:7], s54, v44
	v_cndmask_b32_e64 v44, 0, -1, s[6:7]
	v_cmp_eq_u32_e64 s[6:7], s55, v42
	v_cndmask_b32_e64 v42, v45, v44, s[6:7]
	v_add_co_u32_e64 v44, s[6:7], 2, v39
	v_subb_co_u32_e32 v4, vcc, v43, v4, vcc
	v_addc_co_u32_e64 v45, s[6:7], 0, v40, s[6:7]
	v_cmp_le_u32_e32 vcc, s55, v4
	v_add_co_u32_e64 v46, s[6:7], 1, v39
	v_cndmask_b32_e64 v43, 0, -1, vcc
	v_cmp_le_u32_e32 vcc, s54, v3
	v_addc_co_u32_e64 v47, s[6:7], 0, v40, s[6:7]
	v_cndmask_b32_e64 v3, 0, -1, vcc
	v_cmp_eq_u32_e32 vcc, s55, v4
	v_cmp_ne_u32_e64 s[6:7], 0, v42
	v_cndmask_b32_e32 v3, v43, v3, vcc
	v_cndmask_b32_e64 v42, v47, v45, s[6:7]
	v_cmp_ne_u32_e32 vcc, 0, v3
	v_cndmask_b32_e64 v4, v46, v44, s[6:7]
	v_cndmask_b32_e32 v3, v40, v42, vcc
	v_cndmask_b32_e32 v4, v39, v4, vcc
	v_xor_b32_e32 v39, s52, v41
	v_xor_b32_e32 v40, v3, v39
	;; [unrolled: 1-line block ×3, first 2 shown]
	v_sub_co_u32_e32 v3, vcc, v3, v39
	v_subb_co_u32_e32 v4, vcc, v40, v39, vcc
.LBB1_51:                               ;   in Loop: Header=BB1_43 Depth=4
	s_andn2_saveexec_b64 s[6:7], s[50:51]
	s_cbranch_execz .LBB1_53
; %bb.52:                               ;   in Loop: Header=BB1_43 Depth=4
	v_cvt_f32_u32_e32 v3, s22
	s_sub_i32 s50, 0, s22
	v_rcp_iflag_f32_e32 v3, v3
	v_mul_f32_e32 v3, 0x4f7ffffe, v3
	v_cvt_u32_f32_e32 v3, v3
	v_mul_lo_u32 v4, s50, v3
	v_mul_hi_u32 v4, v3, v4
	v_add_u32_e32 v3, v3, v4
	v_mul_hi_u32 v3, v36, v3
	v_mul_lo_u32 v4, v3, s22
	v_add_u32_e32 v39, 1, v3
	v_sub_u32_e32 v4, v36, v4
	v_subrev_u32_e32 v40, s22, v4
	v_cmp_le_u32_e32 vcc, s22, v4
	v_cndmask_b32_e32 v4, v4, v40, vcc
	v_cndmask_b32_e32 v3, v3, v39, vcc
	v_add_u32_e32 v39, 1, v3
	v_cmp_le_u32_e32 vcc, s22, v4
	v_cndmask_b32_e32 v3, v3, v39, vcc
	v_mov_b32_e32 v4, v2
.LBB1_53:                               ;   in Loop: Header=BB1_43 Depth=4
	s_or_b64 exec, exec, s[6:7]
	v_mul_lo_u32 v41, v4, s22
	v_mul_lo_u32 v42, v3, s71
	v_mad_u64_u32 v[39:40], s[6:7], v3, s22, 0
	v_add3_u32 v40, v40, v42, v41
	v_sub_co_u32_e32 v39, vcc, v36, v39
	v_subb_co_u32_e32 v40, vcc, v38, v40, vcc
	v_cmp_eq_u64_e32 vcc, 0, v[39:40]
	s_and_saveexec_b64 s[6:7], vcc
	s_cbranch_execz .LBB1_40
; %bb.54:                               ;   in Loop: Header=BB1_43 Depth=4
	v_add_co_u32_e32 v19, vcc, v15, v19
	v_addc_co_u32_e32 v20, vcc, v16, v20, vcc
	v_mul_lo_u32 v38, v19, s74
	v_mul_lo_u32 v20, v20, s75
	v_mad_u64_u32 v[3:4], s[50:51], v19, s75, v[3:4]
	v_add3_u32 v4, v20, v4, v38
	v_mul_lo_u32 v19, v4, s78
	v_mul_lo_u32 v20, v3, s77
	v_mad_u64_u32 v[3:4], s[50:51], v3, s78, v[9:10]
	v_add3_u32 v4, v19, v4, v20
	;; [unrolled: 4-line block ×4, first 2 shown]
	global_load_dword v3, v[3:4], off
	s_waitcnt vmcnt(0)
	v_add_f32_e32 v8, v8, v3
	s_branch .LBB1_40
.LBB1_55:
	s_endpgm
	.section	.rodata,"a",@progbits
	.p2align	6, 0x0
	.amdhsa_kernel _Z14col2vol_kernelIffEvlPKT_iiiiiiiiiiiiiiiiiiPS0_
		.amdhsa_group_segment_fixed_size 0
		.amdhsa_private_segment_fixed_size 0
		.amdhsa_kernarg_size 352
		.amdhsa_user_sgpr_count 6
		.amdhsa_user_sgpr_private_segment_buffer 1
		.amdhsa_user_sgpr_dispatch_ptr 0
		.amdhsa_user_sgpr_queue_ptr 0
		.amdhsa_user_sgpr_kernarg_segment_ptr 1
		.amdhsa_user_sgpr_dispatch_id 0
		.amdhsa_user_sgpr_flat_scratch_init 0
		.amdhsa_user_sgpr_private_segment_size 0
		.amdhsa_uses_dynamic_stack 0
		.amdhsa_system_sgpr_private_segment_wavefront_offset 0
		.amdhsa_system_sgpr_workgroup_id_x 1
		.amdhsa_system_sgpr_workgroup_id_y 0
		.amdhsa_system_sgpr_workgroup_id_z 0
		.amdhsa_system_sgpr_workgroup_info 0
		.amdhsa_system_vgpr_workitem_id 0
		.amdhsa_next_free_vgpr 48
		.amdhsa_next_free_sgpr 94
		.amdhsa_reserve_vcc 1
		.amdhsa_reserve_flat_scratch 0
		.amdhsa_float_round_mode_32 0
		.amdhsa_float_round_mode_16_64 0
		.amdhsa_float_denorm_mode_32 3
		.amdhsa_float_denorm_mode_16_64 3
		.amdhsa_dx10_clamp 1
		.amdhsa_ieee_mode 1
		.amdhsa_fp16_overflow 0
		.amdhsa_exception_fp_ieee_invalid_op 0
		.amdhsa_exception_fp_denorm_src 0
		.amdhsa_exception_fp_ieee_div_zero 0
		.amdhsa_exception_fp_ieee_overflow 0
		.amdhsa_exception_fp_ieee_underflow 0
		.amdhsa_exception_fp_ieee_inexact 0
		.amdhsa_exception_int_div_zero 0
	.end_amdhsa_kernel
	.section	.text._Z14col2vol_kernelIffEvlPKT_iiiiiiiiiiiiiiiiiiPS0_,"axG",@progbits,_Z14col2vol_kernelIffEvlPKT_iiiiiiiiiiiiiiiiiiPS0_,comdat
.Lfunc_end1:
	.size	_Z14col2vol_kernelIffEvlPKT_iiiiiiiiiiiiiiiiiiPS0_, .Lfunc_end1-_Z14col2vol_kernelIffEvlPKT_iiiiiiiiiiiiiiiiiiPS0_
                                        ; -- End function
	.set _Z14col2vol_kernelIffEvlPKT_iiiiiiiiiiiiiiiiiiPS0_.num_vgpr, 48
	.set _Z14col2vol_kernelIffEvlPKT_iiiiiiiiiiiiiiiiiiPS0_.num_agpr, 0
	.set _Z14col2vol_kernelIffEvlPKT_iiiiiiiiiiiiiiiiiiPS0_.numbered_sgpr, 94
	.set _Z14col2vol_kernelIffEvlPKT_iiiiiiiiiiiiiiiiiiPS0_.num_named_barrier, 0
	.set _Z14col2vol_kernelIffEvlPKT_iiiiiiiiiiiiiiiiiiPS0_.private_seg_size, 0
	.set _Z14col2vol_kernelIffEvlPKT_iiiiiiiiiiiiiiiiiiPS0_.uses_vcc, 1
	.set _Z14col2vol_kernelIffEvlPKT_iiiiiiiiiiiiiiiiiiPS0_.uses_flat_scratch, 0
	.set _Z14col2vol_kernelIffEvlPKT_iiiiiiiiiiiiiiiiiiPS0_.has_dyn_sized_stack, 0
	.set _Z14col2vol_kernelIffEvlPKT_iiiiiiiiiiiiiiiiiiPS0_.has_recursion, 0
	.set _Z14col2vol_kernelIffEvlPKT_iiiiiiiiiiiiiiiiiiPS0_.has_indirect_call, 0
	.section	.AMDGPU.csdata,"",@progbits
; Kernel info:
; codeLenInByte = 5840
; TotalNumSgprs: 98
; NumVgprs: 48
; ScratchSize: 0
; MemoryBound: 0
; FloatMode: 240
; IeeeMode: 1
; LDSByteSize: 0 bytes/workgroup (compile time only)
; SGPRBlocks: 12
; VGPRBlocks: 11
; NumSGPRsForWavesPerEU: 98
; NumVGPRsForWavesPerEU: 48
; Occupancy: 5
; WaveLimiterHint : 0
; COMPUTE_PGM_RSRC2:SCRATCH_EN: 0
; COMPUTE_PGM_RSRC2:USER_SGPR: 6
; COMPUTE_PGM_RSRC2:TRAP_HANDLER: 0
; COMPUTE_PGM_RSRC2:TGID_X_EN: 1
; COMPUTE_PGM_RSRC2:TGID_Y_EN: 0
; COMPUTE_PGM_RSRC2:TGID_Z_EN: 0
; COMPUTE_PGM_RSRC2:TIDIG_COMP_CNT: 0
	.section	.AMDGPU.gpr_maximums,"",@progbits
	.set amdgpu.max_num_vgpr, 0
	.set amdgpu.max_num_agpr, 0
	.set amdgpu.max_num_sgpr, 0
	.section	.AMDGPU.csdata,"",@progbits
	.type	__hip_cuid_4ad8c4a9bb9821da,@object ; @__hip_cuid_4ad8c4a9bb9821da
	.section	.bss,"aw",@nobits
	.globl	__hip_cuid_4ad8c4a9bb9821da
__hip_cuid_4ad8c4a9bb9821da:
	.byte	0                               ; 0x0
	.size	__hip_cuid_4ad8c4a9bb9821da, 1

	.ident	"AMD clang version 22.0.0git (https://github.com/RadeonOpenCompute/llvm-project roc-7.2.4 26084 f58b06dce1f9c15707c5f808fd002e18c2accf7e)"
	.section	".note.GNU-stack","",@progbits
	.addrsig
	.addrsig_sym __hip_cuid_4ad8c4a9bb9821da
	.amdgpu_metadata
---
amdhsa.kernels:
  - .args:
      - .offset:         0
        .size:           8
        .value_kind:     by_value
      - .address_space:  global
        .offset:         8
        .size:           8
        .value_kind:     global_buffer
      - .offset:         16
        .size:           4
        .value_kind:     by_value
      - .offset:         20
        .size:           4
        .value_kind:     by_value
      - .offset:         24
        .size:           4
        .value_kind:     by_value
      - .offset:         28
        .size:           4
        .value_kind:     by_value
      - .offset:         32
        .size:           4
        .value_kind:     by_value
      - .offset:         36
        .size:           4
        .value_kind:     by_value
      - .offset:         40
        .size:           4
        .value_kind:     by_value
      - .offset:         44
        .size:           4
        .value_kind:     by_value
      - .offset:         48
        .size:           4
        .value_kind:     by_value
      - .offset:         52
        .size:           4
        .value_kind:     by_value
      - .offset:         56
        .size:           4
        .value_kind:     by_value
      - .offset:         60
        .size:           4
        .value_kind:     by_value
      - .offset:         64
        .size:           4
        .value_kind:     by_value
      - .offset:         68
        .size:           4
        .value_kind:     by_value
      - .offset:         72
        .size:           4
        .value_kind:     by_value
      - .offset:         76
        .size:           4
        .value_kind:     by_value
      - .offset:         80
        .size:           4
        .value_kind:     by_value
      - .offset:         84
        .size:           4
        .value_kind:     by_value
      - .address_space:  global
        .offset:         88
        .size:           8
        .value_kind:     global_buffer
      - .offset:         96
        .size:           4
        .value_kind:     hidden_block_count_x
      - .offset:         100
        .size:           4
        .value_kind:     hidden_block_count_y
      - .offset:         104
        .size:           4
        .value_kind:     hidden_block_count_z
      - .offset:         108
        .size:           2
        .value_kind:     hidden_group_size_x
      - .offset:         110
        .size:           2
        .value_kind:     hidden_group_size_y
      - .offset:         112
        .size:           2
        .value_kind:     hidden_group_size_z
      - .offset:         114
        .size:           2
        .value_kind:     hidden_remainder_x
      - .offset:         116
        .size:           2
        .value_kind:     hidden_remainder_y
      - .offset:         118
        .size:           2
        .value_kind:     hidden_remainder_z
      - .offset:         136
        .size:           8
        .value_kind:     hidden_global_offset_x
      - .offset:         144
        .size:           8
        .value_kind:     hidden_global_offset_y
      - .offset:         152
        .size:           8
        .value_kind:     hidden_global_offset_z
      - .offset:         160
        .size:           2
        .value_kind:     hidden_grid_dims
    .group_segment_fixed_size: 0
    .kernarg_segment_align: 8
    .kernarg_segment_size: 352
    .language:       OpenCL C
    .language_version:
      - 2
      - 0
    .max_flat_workgroup_size: 1024
    .name:           _Z14vol2col_kernelIfEvlPKT_iiiiiiiiiiiiiiiiiiPS0_
    .private_segment_fixed_size: 0
    .sgpr_count:     65
    .sgpr_spill_count: 0
    .symbol:         _Z14vol2col_kernelIfEvlPKT_iiiiiiiiiiiiiiiiiiPS0_.kd
    .uniform_work_group_size: 1
    .uses_dynamic_stack: false
    .vgpr_count:     16
    .vgpr_spill_count: 0
    .wavefront_size: 64
  - .args:
      - .offset:         0
        .size:           8
        .value_kind:     by_value
      - .address_space:  global
        .offset:         8
        .size:           8
        .value_kind:     global_buffer
      - .offset:         16
        .size:           4
        .value_kind:     by_value
      - .offset:         20
        .size:           4
        .value_kind:     by_value
      - .offset:         24
        .size:           4
        .value_kind:     by_value
      - .offset:         28
        .size:           4
        .value_kind:     by_value
      - .offset:         32
        .size:           4
        .value_kind:     by_value
      - .offset:         36
        .size:           4
        .value_kind:     by_value
      - .offset:         40
        .size:           4
        .value_kind:     by_value
      - .offset:         44
        .size:           4
        .value_kind:     by_value
      - .offset:         48
        .size:           4
        .value_kind:     by_value
      - .offset:         52
        .size:           4
        .value_kind:     by_value
      - .offset:         56
        .size:           4
        .value_kind:     by_value
      - .offset:         60
        .size:           4
        .value_kind:     by_value
      - .offset:         64
        .size:           4
        .value_kind:     by_value
      - .offset:         68
        .size:           4
        .value_kind:     by_value
      - .offset:         72
        .size:           4
        .value_kind:     by_value
      - .offset:         76
        .size:           4
        .value_kind:     by_value
      - .offset:         80
        .size:           4
        .value_kind:     by_value
      - .offset:         84
        .size:           4
        .value_kind:     by_value
      - .address_space:  global
        .offset:         88
        .size:           8
        .value_kind:     global_buffer
      - .offset:         96
        .size:           4
        .value_kind:     hidden_block_count_x
      - .offset:         100
        .size:           4
        .value_kind:     hidden_block_count_y
      - .offset:         104
        .size:           4
        .value_kind:     hidden_block_count_z
      - .offset:         108
        .size:           2
        .value_kind:     hidden_group_size_x
      - .offset:         110
        .size:           2
        .value_kind:     hidden_group_size_y
      - .offset:         112
        .size:           2
        .value_kind:     hidden_group_size_z
      - .offset:         114
        .size:           2
        .value_kind:     hidden_remainder_x
      - .offset:         116
        .size:           2
        .value_kind:     hidden_remainder_y
      - .offset:         118
        .size:           2
        .value_kind:     hidden_remainder_z
      - .offset:         136
        .size:           8
        .value_kind:     hidden_global_offset_x
      - .offset:         144
        .size:           8
        .value_kind:     hidden_global_offset_y
      - .offset:         152
        .size:           8
        .value_kind:     hidden_global_offset_z
      - .offset:         160
        .size:           2
        .value_kind:     hidden_grid_dims
    .group_segment_fixed_size: 0
    .kernarg_segment_align: 8
    .kernarg_segment_size: 352
    .language:       OpenCL C
    .language_version:
      - 2
      - 0
    .max_flat_workgroup_size: 1024
    .name:           _Z14col2vol_kernelIffEvlPKT_iiiiiiiiiiiiiiiiiiPS0_
    .private_segment_fixed_size: 0
    .sgpr_count:     98
    .sgpr_spill_count: 0
    .symbol:         _Z14col2vol_kernelIffEvlPKT_iiiiiiiiiiiiiiiiiiPS0_.kd
    .uniform_work_group_size: 1
    .uses_dynamic_stack: false
    .vgpr_count:     48
    .vgpr_spill_count: 0
    .wavefront_size: 64
amdhsa.target:   amdgcn-amd-amdhsa--gfx906
amdhsa.version:
  - 1
  - 2
...

	.end_amdgpu_metadata
